;; amdgpu-corpus repo=ROCm/rocFFT kind=compiled arch=gfx950 opt=O3
	.text
	.amdgcn_target "amdgcn-amd-amdhsa--gfx950"
	.amdhsa_code_object_version 6
	.protected	bluestein_single_fwd_len3600_dim1_sp_op_CI_CI ; -- Begin function bluestein_single_fwd_len3600_dim1_sp_op_CI_CI
	.globl	bluestein_single_fwd_len3600_dim1_sp_op_CI_CI
	.p2align	8
	.type	bluestein_single_fwd_len3600_dim1_sp_op_CI_CI,@function
bluestein_single_fwd_len3600_dim1_sp_op_CI_CI: ; @bluestein_single_fwd_len3600_dim1_sp_op_CI_CI
; %bb.0:
	s_load_dwordx4 s[12:15], s[0:1], 0x28
	v_mul_u32_u24_e32 v1, 0x223, v0
	v_add_u32_sdwa v246, s2, v1 dst_sel:DWORD dst_unused:UNUSED_PAD src0_sel:DWORD src1_sel:WORD_1
	v_mov_b32_e32 v247, 0
	s_waitcnt lgkmcnt(0)
	v_cmp_gt_u64_e32 vcc, s[12:13], v[246:247]
	s_and_saveexec_b64 s[2:3], vcc
	s_cbranch_execz .LBB0_2
; %bb.1:
	s_load_dwordx4 s[4:7], s[0:1], 0x0
	s_load_dwordx4 s[8:11], s[0:1], 0x18
	s_load_dwordx2 s[2:3], s[0:1], 0x38
	s_movk_i32 s0, 0x78
	v_mul_lo_u16_sdwa v1, v1, s0 dst_sel:DWORD dst_unused:UNUSED_PAD src0_sel:WORD_1 src1_sel:DWORD
	s_mov_b32 s0, 0
	v_mov_b32_e32 v229, s0
	s_waitcnt lgkmcnt(0)
	v_mov_b32_e32 v4, s2
	v_mov_b32_e32 v5, s3
	s_load_dwordx4 s[0:3], s[10:11], 0x0
	v_accvgpr_write_b32 a17, v5
	v_accvgpr_write_b32 a16, v4
	v_sub_u16_e32 v228, v0, v1
	v_mov_b32_e32 v2, s14
	s_waitcnt lgkmcnt(0)
	v_mad_u64_u32 v[4:5], s[10:11], s2, v246, 0
	s_load_dwordx4 s[8:11], s[8:9], 0x0
	v_mov_b32_e32 v0, v5
	v_mad_u64_u32 v[0:1], s[2:3], s3, v246, v[0:1]
	v_mov_b32_e32 v5, v0
	v_accvgpr_write_b32 a21, v5
	s_waitcnt lgkmcnt(0)
	v_mad_u64_u32 v[0:1], s[2:3], s10, v246, 0
	v_accvgpr_write_b32 a20, v4
	v_mov_b32_e32 v4, v1
	v_mad_u64_u32 v[4:5], s[2:3], s11, v246, v[4:5]
	v_mov_b32_e32 v1, v4
	v_mad_u64_u32 v[4:5], s[2:3], s8, v228, 0
	v_mov_b32_e32 v6, v5
	v_mov_b32_e32 v3, s15
	v_mad_u64_u32 v[6:7], s[2:3], s9, v228, v[6:7]
	v_mov_b32_e32 v5, v6
	v_lshl_add_u64 v[0:1], v[0:1], 3, v[2:3]
	v_lshl_add_u64 v[4:5], v[4:5], 3, v[0:1]
	v_lshlrev_b32_e32 v246, 3, v228
	global_load_dwordx2 v[6:7], v[4:5], off
	global_load_dwordx2 v[8:9], v246, s[4:5]
	v_mov_b32_e32 v94, 0xb40
	v_mad_u64_u32 v[4:5], s[2:3], s8, v94, v[4:5]
	s_mul_i32 s2, s9, 0xb40
	s_nop 0
	v_add_u32_e32 v5, s2, v5
	v_lshl_add_u64 v[2:3], s[4:5], 0, v[246:247]
	s_movk_i32 s3, 0x1000
	v_add_co_u32_e32 v12, vcc, s3, v2
	s_movk_i32 s18, 0x2000
	s_nop 0
	v_addc_co_u32_e32 v13, vcc, 0, v3, vcc
	s_movk_i32 s19, 0x3000
	s_movk_i32 s20, 0x4000
	;; [unrolled: 1-line block ×4, first 2 shown]
	s_add_u32 s16, s4, 0x7080
	s_addc_u32 s17, s5, 0
	v_mov_b32_e32 v34, 0xffff9e80
	v_add_u32_e32 v249, 0x3800, v246
	v_add_u32_e32 v250, 0x2c00, v246
	s_mov_b32 s14, 0xbf167918
	v_add_u32_e32 v251, 0x3400, v246
	v_add_u32_e32 v226, 0x400, v246
	s_movk_i32 s23, 0x48
	s_waitcnt vmcnt(0)
	v_accvgpr_write_b32 a45, v9
	v_mul_f32_e32 v14, v7, v9
	v_fmac_f32_e32 v14, v6, v8
	v_mul_f32_e32 v6, v6, v9
	v_fma_f32 v15, v7, v8, -v6
	global_load_dwordx2 v[6:7], v[4:5], off
	global_load_dwordx2 v[10:11], v246, s[4:5] offset:2880
	v_accvgpr_write_b32 a44, v8
	v_mad_u64_u32 v[4:5], s[10:11], s8, v94, v[4:5]
	v_add_u32_e32 v5, s2, v5
	s_waitcnt vmcnt(0)
	v_mul_f32_e32 v8, v7, v11
	v_fmac_f32_e32 v8, v6, v10
	v_mul_f32_e32 v6, v6, v11
	v_accvgpr_write_b32 a43, v11
	v_fma_f32 v9, v7, v10, -v6
	v_accvgpr_write_b32 a42, v10
	global_load_dwordx2 v[6:7], v[4:5], off
	global_load_dwordx2 v[10:11], v[12:13], off offset:1664
	ds_write_b64 v246, v[8:9] offset:2880
	v_mad_u64_u32 v[4:5], s[10:11], s8, v94, v[4:5]
	v_add_u32_e32 v5, s2, v5
	s_waitcnt vmcnt(0)
	v_mul_f32_e32 v8, v7, v11
	v_fmac_f32_e32 v8, v6, v10
	v_mul_f32_e32 v6, v6, v11
	v_accvgpr_write_b32 a39, v11
	v_fma_f32 v9, v7, v10, -v6
	v_accvgpr_write_b32 a38, v10
	v_add_co_u32_e32 v10, vcc, s18, v2
	global_load_dwordx2 v[6:7], v[4:5], off
	s_nop 0
	v_addc_co_u32_e32 v11, vcc, 0, v3, vcc
	global_load_dwordx2 v[16:17], v[10:11], off offset:448
	ds_write_b64 v246, v[8:9] offset:5760
	v_mad_u64_u32 v[4:5], s[10:11], s8, v94, v[4:5]
	v_add_u32_e32 v5, s2, v5
	s_waitcnt vmcnt(0)
	v_mul_f32_e32 v8, v7, v17
	v_fmac_f32_e32 v8, v6, v16
	v_mul_f32_e32 v6, v6, v17
	v_fma_f32 v9, v7, v16, -v6
	v_accvgpr_write_b32 a37, v17
	ds_write_b64 v246, v[8:9] offset:8640
	v_accvgpr_write_b32 a36, v16
	global_load_dwordx2 v[6:7], v[4:5], off
	global_load_dwordx2 v[16:17], v[10:11], off offset:3328
	v_mad_u64_u32 v[4:5], s[10:11], s8, v94, v[4:5]
	v_add_u32_e32 v5, s2, v5
	s_waitcnt vmcnt(0)
	v_mul_f32_e32 v8, v7, v17
	v_fmac_f32_e32 v8, v6, v16
	v_mul_f32_e32 v6, v6, v17
	v_fma_f32 v9, v7, v16, -v6
	ds_write_b64 v246, v[8:9] offset:11520
	v_add_co_u32_e32 v8, vcc, s19, v2
	global_load_dwordx2 v[6:7], v[4:5], off
	s_nop 0
	v_addc_co_u32_e32 v9, vcc, 0, v3, vcc
	global_load_dwordx2 v[18:19], v[8:9], off offset:2112
	v_accvgpr_write_b32 a35, v17
	v_accvgpr_write_b32 a34, v16
	v_mad_u64_u32 v[4:5], s[10:11], s8, v94, v[4:5]
	v_add_u32_e32 v5, s2, v5
	s_waitcnt vmcnt(0)
	v_mul_f32_e32 v16, v7, v19
	v_fmac_f32_e32 v16, v6, v18
	v_mul_f32_e32 v6, v6, v19
	v_fma_f32 v17, v7, v18, -v6
	v_add_co_u32_e32 v6, vcc, s20, v2
	ds_write_b64 v246, v[16:17] offset:14400
	s_nop 0
	v_addc_co_u32_e32 v7, vcc, 0, v3, vcc
	global_load_dwordx2 v[16:17], v[4:5], off
	global_load_dwordx2 v[20:21], v[6:7], off offset:896
	v_accvgpr_write_b32 a33, v19
	v_accvgpr_write_b32 a32, v18
	v_mad_u64_u32 v[4:5], s[10:11], s8, v94, v[4:5]
	v_add_u32_e32 v5, s2, v5
	s_waitcnt vmcnt(0)
	v_mul_f32_e32 v18, v17, v21
	v_fmac_f32_e32 v18, v16, v20
	v_mul_f32_e32 v16, v16, v21
	v_fma_f32 v19, v17, v20, -v16
	v_accvgpr_write_b32 a31, v21
	ds_write_b64 v246, v[18:19] offset:17280
	v_accvgpr_write_b32 a30, v20
	global_load_dwordx2 v[16:17], v[4:5], off
	global_load_dwordx2 v[20:21], v[6:7], off offset:3776
	s_waitcnt vmcnt(0)
	v_mul_f32_e32 v18, v17, v21
	v_fmac_f32_e32 v18, v16, v20
	v_mul_f32_e32 v16, v16, v21
	v_fma_f32 v19, v17, v20, -v16
	v_mad_u64_u32 v[16:17], s[10:11], s8, v94, v[4:5]
	v_add_co_u32_e32 v4, vcc, s22, v2
	v_add_u32_e32 v17, s2, v17
	s_nop 0
	v_addc_co_u32_e32 v5, vcc, 0, v3, vcc
	ds_write_b64 v246, v[18:19] offset:20160
	global_load_dwordx2 v[18:19], v[16:17], off
	global_load_dwordx2 v[22:23], v[4:5], off offset:2560
	v_accvgpr_write_b32 a29, v21
	v_accvgpr_write_b32 a28, v20
	v_mad_u64_u32 v[16:17], s[10:11], s8, v94, v[16:17]
	v_add_co_u32_e32 v2, vcc, s21, v2
	v_add_u32_e32 v17, s2, v17
	s_nop 0
	v_addc_co_u32_e32 v3, vcc, 0, v3, vcc
	s_mov_b64 s[10:11], 0x78
	v_lshl_add_u64 v[88:89], v[228:229], 0, s[10:11]
	s_waitcnt vmcnt(0)
	v_mul_f32_e32 v20, v19, v23
	v_fmac_f32_e32 v20, v18, v22
	v_mul_f32_e32 v18, v18, v23
	v_accvgpr_write_b32 a27, v23
	v_fma_f32 v21, v19, v22, -v18
	v_accvgpr_write_b32 a26, v22
	global_load_dwordx2 v[18:19], v[16:17], off
	global_load_dwordx2 v[22:23], v[2:3], off offset:1344
	ds_write_b64 v246, v[20:21] offset:23040
	s_waitcnt vmcnt(0)
	v_mul_f32_e32 v20, v19, v23
	v_fmac_f32_e32 v20, v18, v22
	v_mul_f32_e32 v18, v18, v23
	v_fma_f32 v21, v19, v22, -v18
	v_mov_b32_e32 v18, 0xffff9e80
	v_mad_u64_u32 v[16:17], s[10:11], s8, v18, v[16:17]
	s_mul_i32 s10, s9, 0xffff9e80
	s_sub_i32 s12, s10, s8
	v_accvgpr_write_b32 a22, v22
	ds_write_b64 v246, v[20:21] offset:25920
	v_add_u32_e32 v17, s12, v17
	v_accvgpr_write_b32 a23, v23
	global_load_dwordx2 v[18:19], v[16:17], off
	global_load_dwordx2 v[22:23], v246, s[4:5] offset:960
	s_waitcnt vmcnt(0)
	v_mul_f32_e32 v20, v19, v23
	v_fmac_f32_e32 v20, v18, v22
	v_mul_f32_e32 v18, v18, v23
	v_fma_f32 v21, v19, v22, -v18
	ds_write2_b64 v246, v[14:15], v[20:21] offset1:120
	v_mad_u64_u32 v[14:15], s[10:11], s8, v94, v[16:17]
	v_add_u32_e32 v15, s2, v15
	global_load_dwordx2 v[16:17], v[14:15], off
	global_load_dwordx2 v[18:19], v246, s[4:5] offset:3840
	v_mad_u64_u32 v[14:15], s[10:11], s8, v94, v[14:15]
	v_add_u32_e32 v15, s2, v15
	v_accvgpr_write_b32 a41, v23
	v_accvgpr_write_b32 a40, v22
	v_or_b32_e32 v20, 0x780, v228
	v_accvgpr_write_b32 a6, v20
	s_waitcnt vmcnt(0)
	v_mul_f32_e32 v28, v17, v19
	v_fmac_f32_e32 v28, v16, v18
	v_mul_f32_e32 v16, v16, v19
	v_accvgpr_write_b32 a25, v19
	v_fma_f32 v29, v17, v18, -v16
	v_accvgpr_write_b32 a24, v18
	global_load_dwordx2 v[16:17], v[14:15], off
	global_load_dwordx2 v[18:19], v[12:13], off offset:2624
	v_mad_u64_u32 v[14:15], s[10:11], s8, v94, v[14:15]
	v_add_u32_e32 v15, s2, v15
	s_waitcnt vmcnt(0)
	v_mul_f32_e32 v26, v17, v19
	v_fmac_f32_e32 v26, v16, v18
	v_mul_f32_e32 v16, v16, v19
	v_accvgpr_write_b32 a18, v18
	v_fma_f32 v27, v17, v18, -v16
	v_accvgpr_write_b32 a19, v19
	global_load_dwordx2 v[16:17], v[14:15], off
	global_load_dwordx2 v[18:19], v[10:11], off offset:1408
	v_mad_u64_u32 v[14:15], s[10:11], s8, v94, v[14:15]
	v_add_u32_e32 v15, s2, v15
	s_waitcnt vmcnt(0)
	v_mul_f32_e32 v24, v17, v19
	v_fmac_f32_e32 v24, v16, v18
	v_mul_f32_e32 v16, v16, v19
	v_accvgpr_write_b32 a14, v18
	v_fma_f32 v25, v17, v18, -v16
	v_accvgpr_write_b32 a15, v19
	global_load_dwordx2 v[16:17], v[14:15], off
	global_load_dwordx2 v[18:19], v[8:9], off offset:192
	s_waitcnt vmcnt(0)
	v_mul_f32_e32 v22, v17, v19
	v_fmac_f32_e32 v22, v16, v18
	v_mul_f32_e32 v16, v16, v19
	v_fma_f32 v23, v17, v18, -v16
	v_accvgpr_write_b32 a12, v18
	v_mad_u64_u32 v[16:17], s[10:11], s8, v20, 0
	v_accvgpr_write_b32 a13, v19
	v_mov_b32_e32 v18, v17
	v_mad_u64_u32 v[18:19], s[10:11], s9, v20, v[18:19]
	v_mov_b32_e32 v17, v18
	v_lshl_add_u64 v[0:1], v[16:17], 3, v[0:1]
	v_lshlrev_b32_e32 v18, 3, v20
	global_load_dwordx2 v[0:1], v[0:1], off
	s_mulk_i32 s9, 0x1680
	global_load_dwordx2 v[16:17], v18, s[4:5]
	v_accvgpr_write_b32 a87, v18
	s_waitcnt vmcnt(0)
	v_mul_f32_e32 v20, v1, v17
	v_fmac_f32_e32 v20, v0, v16
	v_mul_f32_e32 v0, v0, v17
	v_fma_f32 v21, v1, v16, -v0
	v_mov_b32_e32 v0, 0x1680
	v_mad_u64_u32 v[0:1], s[10:11], s8, v0, v[14:15]
	v_accvgpr_write_b32 a10, v16
	v_add_u32_e32 v1, s9, v1
	v_accvgpr_write_b32 a11, v17
	global_load_dwordx2 v[14:15], v[0:1], off
	global_load_dwordx2 v[16:17], v[6:7], off offset:1856
	v_mad_u64_u32 v[0:1], s[10:11], s8, v94, v[0:1]
	v_add_u32_e32 v1, s2, v1
	s_waitcnt vmcnt(0)
	v_mul_f32_e32 v18, v15, v17
	v_fmac_f32_e32 v18, v14, v16
	v_mul_f32_e32 v14, v14, v17
	v_fma_f32 v19, v15, v16, -v14
	global_load_dwordx2 v[14:15], v[0:1], off
	global_load_dwordx2 v[30:31], v[4:5], off offset:640
	v_accvgpr_write_b32 a8, v16
	v_accvgpr_write_b32 a9, v17
	v_mad_u64_u32 v[0:1], s[10:11], s8, v94, v[0:1]
	v_add_u32_e32 v1, s2, v1
	s_waitcnt vmcnt(0)
	v_mul_f32_e32 v16, v15, v31
	v_fmac_f32_e32 v16, v14, v30
	v_mul_f32_e32 v14, v14, v31
	v_accvgpr_write_b32 a4, v30
	v_fma_f32 v17, v15, v30, -v14
	v_accvgpr_write_b32 a5, v31
	global_load_dwordx2 v[30:31], v[0:1], off
	global_load_dwordx2 v[32:33], v[4:5], off offset:3520
	s_waitcnt vmcnt(0)
	v_mul_f32_e32 v14, v31, v33
	v_mul_f32_e32 v15, v30, v33
	v_fmac_f32_e32 v14, v30, v32
	v_fma_f32 v15, v31, v32, -v15
	v_mad_u64_u32 v[30:31], s[10:11], s8, v94, v[0:1]
	v_accvgpr_write_b32 a2, v32
	v_add_u32_e32 v31, s2, v31
	v_accvgpr_write_b32 a3, v33
	global_load_dwordx2 v[32:33], v[30:31], off
	global_load_dwordx2 v[36:37], v[2:3], off offset:2304
	s_mov_b64 s[10:11], 0xf0
	v_lshl_add_u64 v[90:91], v[228:229], 0, s[10:11]
	v_mad_u64_u32 v[30:31], s[10:11], s8, v34, v[30:31]
	v_add_u32_e32 v31, s12, v31
	s_mov_b32 s10, 0x3f4f1bbd
	s_mov_b32 s12, 0xbf737871
	s_waitcnt vmcnt(0)
	v_mul_f32_e32 v0, v33, v37
	v_mul_f32_e32 v1, v32, v37
	v_accvgpr_write_b32 a0, v36
	v_fmac_f32_e32 v0, v32, v36
	v_fma_f32 v1, v33, v36, -v1
	v_accvgpr_write_b32 a1, v37
	global_load_dwordx2 v[32:33], v[30:31], off
	global_load_dwordx2 v[36:37], v246, s[4:5] offset:1920
	v_mad_u64_u32 v[30:31], s[4:5], s8, v94, v[30:31]
	v_add_u32_e32 v31, s2, v31
	s_waitcnt vmcnt(0)
	v_mul_f32_e32 v34, v33, v37
	v_fmac_f32_e32 v34, v32, v36
	v_mul_f32_e32 v32, v32, v37
	v_fma_f32 v35, v33, v36, -v32
	v_accvgpr_write_b32 a49, v37
	ds_write_b64 v246, v[34:35] offset:1920
	v_accvgpr_write_b32 a48, v36
	global_load_dwordx2 v[32:33], v[30:31], off
	global_load_dwordx2 v[36:37], v[12:13], off offset:704
	s_waitcnt vmcnt(0)
	v_mul_f32_e32 v34, v33, v37
	v_fmac_f32_e32 v34, v32, v36
	v_mul_f32_e32 v32, v32, v37
	v_fma_f32 v35, v33, v36, -v32
	v_add_u32_e32 v32, 0xc00, v246
	ds_write2_b64 v32, v[28:29], v[34:35] offset0:96 offset1:216
	v_mad_u64_u32 v[28:29], s[4:5], s8, v94, v[30:31]
	v_add_u32_e32 v29, s2, v29
	v_mov_b32_e32 v227, v32
	global_load_dwordx2 v[30:31], v[28:29], off
	global_load_dwordx2 v[32:33], v[12:13], off offset:3584
	v_accvgpr_write_b32 a47, v37
	v_accvgpr_write_b32 a46, v36
	s_waitcnt vmcnt(0)
	v_mul_f32_e32 v12, v31, v33
	v_mul_f32_e32 v13, v30, v33
	v_fmac_f32_e32 v12, v30, v32
	v_fma_f32 v13, v31, v32, -v13
	v_add_u32_e32 v30, 0x1800, v246
	ds_write2_b64 v30, v[26:27], v[12:13] offset0:72 offset1:192
	v_mad_u64_u32 v[12:13], s[4:5], s8, v94, v[28:29]
	v_add_u32_e32 v13, s2, v13
	global_load_dwordx2 v[26:27], v[12:13], off
	global_load_dwordx2 v[28:29], v[10:11], off offset:2368
	v_accvgpr_write_b32 a51, v33
	v_accvgpr_write_b32 a50, v32
	;; [unrolled: 1-line block ×3, first 2 shown]
	s_waitcnt vmcnt(0)
	v_mul_f32_e32 v10, v27, v29
	v_mul_f32_e32 v11, v26, v29
	v_fmac_f32_e32 v10, v26, v28
	v_fma_f32 v11, v27, v28, -v11
	v_add_u32_e32 v26, 0x2400, v246
	ds_write2_b64 v26, v[24:25], v[10:11] offset0:48 offset1:168
	v_mad_u64_u32 v[10:11], s[4:5], s8, v94, v[12:13]
	v_add_u32_e32 v11, s2, v11
	v_mov_b32_e32 v248, v26
	global_load_dwordx2 v[12:13], v[10:11], off
	global_load_dwordx2 v[26:27], v[8:9], off offset:1152
	v_mad_u64_u32 v[10:11], s[4:5], s8, v94, v[10:11]
	v_add_u32_e32 v11, s2, v11
	v_accvgpr_write_b32 a55, v29
	v_accvgpr_write_b32 a54, v28
	s_waitcnt vmcnt(0)
	v_mul_f32_e32 v24, v13, v27
	v_fmac_f32_e32 v24, v12, v26
	v_mul_f32_e32 v12, v12, v27
	v_fma_f32 v25, v13, v26, -v12
	v_add_u32_e32 v12, 0x3000, v246
	ds_write2_b64 v12, v[22:23], v[24:25] offset0:24 offset1:144
	v_accvgpr_write_b32 a97, v12
	global_load_dwordx2 v[12:13], v[10:11], off
	global_load_dwordx2 v[22:23], v[8:9], off offset:4032
	v_accvgpr_write_b32 a53, v27
	v_accvgpr_write_b32 a52, v26
	s_waitcnt vmcnt(0)
	v_mul_f32_e32 v8, v13, v23
	v_mul_f32_e32 v9, v12, v23
	v_fmac_f32_e32 v8, v12, v22
	v_fma_f32 v9, v13, v22, -v9
	ds_write2_b64 v249, v[20:21], v[8:9] offset0:128 offset1:248
	v_mad_u64_u32 v[8:9], s[4:5], s8, v94, v[10:11]
	v_add_u32_e32 v9, s2, v9
	global_load_dwordx2 v[10:11], v[8:9], off
	global_load_dwordx2 v[12:13], v[6:7], off offset:2816
	v_accvgpr_write_b32 a57, v23
	v_accvgpr_write_b32 a56, v22
	s_waitcnt vmcnt(0)
	v_mul_f32_e32 v6, v11, v13
	v_mul_f32_e32 v7, v10, v13
	v_fmac_f32_e32 v6, v10, v12
	v_fma_f32 v7, v11, v12, -v7
	v_add_u32_e32 v10, 0x4400, v246
	ds_write2_b64 v10, v[18:19], v[6:7] offset0:104 offset1:224
	v_mad_u64_u32 v[6:7], s[4:5], s8, v94, v[8:9]
	v_add_u32_e32 v7, s2, v7
	v_accvgpr_write_b32 a99, v10
	global_load_dwordx2 v[8:9], v[6:7], off
	global_load_dwordx2 v[10:11], v[4:5], off offset:1600
	v_accvgpr_write_b32 a59, v13
	v_accvgpr_write_b32 a58, v12
	v_add_u32_e32 v12, 0x4000, v246
	v_mov_b32_e32 v188, v12
	s_waitcnt vmcnt(0)
	v_mul_f32_e32 v4, v9, v11
	v_mul_f32_e32 v5, v8, v11
	v_fmac_f32_e32 v4, v8, v10
	v_fma_f32 v5, v9, v10, -v5
	v_add_u32_e32 v8, 0x5000, v246
	ds_write2_b64 v8, v[16:17], v[4:5] offset0:80 offset1:200
	v_mad_u64_u32 v[4:5], s[4:5], s8, v94, v[6:7]
	v_accvgpr_write_b32 a63, v11
	v_add_u32_e32 v5, s2, v5
	v_accvgpr_write_b32 a62, v10
	global_load_dwordx2 v[6:7], v[4:5], off
	global_load_dwordx2 v[10:11], v[2:3], off offset:384
	v_mov_b32_e32 v16, v8
	v_mov_b32_e32 v129, v16
	s_waitcnt vmcnt(0)
	v_mul_f32_e32 v8, v7, v11
	v_fmac_f32_e32 v8, v6, v10
	v_mul_f32_e32 v6, v6, v11
	v_fma_f32 v9, v7, v10, -v6
	v_add_u32_e32 v6, 0x5c00, v246
	ds_write2_b64 v6, v[14:15], v[8:9] offset0:56 offset1:176
	v_accvgpr_write_b32 a101, v6
	v_mad_u64_u32 v[6:7], s[4:5], s8, v94, v[4:5]
	v_add_u32_e32 v7, s2, v7
	global_load_dwordx2 v[4:5], v[6:7], off
	global_load_dwordx2 v[8:9], v[2:3], off offset:3264
	v_accvgpr_write_b32 a61, v11
	v_accvgpr_write_b32 a60, v10
	s_mov_b32 s4, 0x3f737871
	s_mov_b32 s8, 0x3f167918
	;; [unrolled: 1-line block ×5, first 2 shown]
	s_waitcnt vmcnt(0)
	v_mul_f32_e32 v2, v5, v9
	v_mul_f32_e32 v3, v4, v9
	v_fmac_f32_e32 v2, v4, v8
	v_fma_f32 v3, v5, v8, -v3
	v_add_u32_e32 v4, 0x6800, v246
	ds_write2_b64 v4, v[0:1], v[2:3] offset0:32 offset1:152
	v_mul_lo_u16_e32 v0, 10, v228
	v_mov_b32_e32 v20, v4
	v_lshlrev_b32_e32 v95, 3, v0
	v_mul_u32_u24_e32 v0, 10, v88
	v_add_u32_e32 v4, 0x1400, v246
	v_accvgpr_write_b32 a65, v9
	s_waitcnt lgkmcnt(0)
	s_barrier
	v_lshlrev_b32_e32 v229, 3, v0
	ds_read2_b64 v[70:73], v246 offset1:120
	ds_read2_b64 v[0:3], v227 offset0:96 offset1:216
	ds_read2_b64 v[58:61], v4 offset0:80 offset1:200
	v_accvgpr_write_b32 a64, v8
	v_mov_b32_e32 v254, v4
	ds_read2_b64 v[4:7], v248 offset0:48 offset1:168
	ds_read2_b64 v[62:65], v250 offset0:32 offset1:152
	;; [unrolled: 1-line block ×5, first 2 shown]
	v_add_u32_e32 v16, 0x5800, v246
	ds_read2_b64 v[66:69], v16 offset0:64 offset1:184
	v_mov_b32_e32 v252, v16
	ds_read2_b64 v[16:19], v20 offset0:32 offset1:152
	v_mov_b32_e32 v128, v20
	s_waitcnt lgkmcnt(7)
	v_pk_add_f32 v[20:21], v[72:73], v[60:61]
	s_waitcnt lgkmcnt(3)
	v_pk_add_f32 v[22:23], v[64:65], v[36:37]
	v_pk_add_f32 v[20:21], v[20:21], v[64:65]
	v_pk_add_f32 v[32:33], v[64:65], v[36:37] neg_lo:[0,1] neg_hi:[0,1]
	v_pk_add_f32 v[20:21], v[20:21], v[36:37]
	s_waitcnt lgkmcnt(1)
	v_pk_add_f32 v[42:43], v[68:69], v[36:37] neg_lo:[0,1] neg_hi:[0,1]
	v_pk_add_f32 v[44:45], v[64:65], v[60:61] neg_lo:[0,1] neg_hi:[0,1]
	;; [unrolled: 1-line block ×4, first 2 shown]
	s_waitcnt lgkmcnt(0)
	v_pk_add_f32 v[48:49], v[4:5], v[16:17]
	v_pk_add_f32 v[24:25], v[60:61], v[68:69] neg_lo:[0,1] neg_hi:[0,1]
	v_pk_add_f32 v[36:37], v[44:45], v[36:37]
	v_pk_add_f32 v[44:45], v[4:5], v[16:17] neg_lo:[0,1] neg_hi:[0,1]
	v_pk_fma_f32 v[48:49], v[48:49], 0.5, v[0:1] op_sel_hi:[1,0,1] neg_lo:[1,0,0] neg_hi:[1,0,0]
	v_pk_mul_f32 v[50:51], v[46:47], s[4:5] op_sel_hi:[1,0]
	v_pk_add_f32 v[54:55], v[8:9], v[4:5] neg_lo:[0,1] neg_hi:[0,1]
	v_pk_add_f32 v[56:57], v[12:13], v[16:17] neg_lo:[0,1] neg_hi:[0,1]
	v_pk_fma_f32 v[22:23], v[22:23], 0.5, v[72:73] op_sel_hi:[1,0,1] neg_lo:[1,0,0] neg_hi:[1,0,0]
	v_pk_mul_f32 v[26:27], v[24:25], s[4:5] op_sel_hi:[1,0]
	v_pk_add_f32 v[40:41], v[60:61], v[64:65] neg_lo:[0,1] neg_hi:[0,1]
	v_pk_mul_f32 v[52:53], v[44:45], s[8:9] op_sel_hi:[1,0]
	v_pk_add_f32 v[54:55], v[54:55], v[56:57]
	v_pk_add_f32 v[56:57], v[48:49], v[50:51] op_sel:[0,1] op_sel_hi:[1,0] neg_lo:[0,1] neg_hi:[0,1]
	v_pk_add_f32 v[48:49], v[48:49], v[50:51] op_sel:[0,1] op_sel_hi:[1,0]
	v_pk_mul_f32 v[38:39], v[32:33], s[8:9] op_sel_hi:[1,0]
	v_pk_add_f32 v[40:41], v[40:41], v[42:43]
	v_pk_add_f32 v[42:43], v[22:23], v[26:27] op_sel:[0,1] op_sel_hi:[1,0]
	v_pk_add_f32 v[22:23], v[22:23], v[26:27] op_sel:[0,1] op_sel_hi:[1,0] neg_lo:[0,1] neg_hi:[0,1]
	v_pk_add_f32 v[48:49], v[48:49], v[52:53] op_sel:[0,1] op_sel_hi:[1,0] neg_lo:[0,1] neg_hi:[0,1]
	v_pk_add_f32 v[50:51], v[56:57], v[52:53] op_sel:[0,1] op_sel_hi:[1,0]
	v_pk_add_f32 v[22:23], v[22:23], v[38:39] op_sel:[0,1] op_sel_hi:[1,0] neg_lo:[0,1] neg_hi:[0,1]
	v_pk_add_f32 v[38:39], v[42:43], v[38:39] op_sel:[0,1] op_sel_hi:[1,0]
	v_mov_b32_e32 v52, v50
	v_mov_b32_e32 v53, v49
	;; [unrolled: 1-line block ×4, first 2 shown]
	v_pk_fma_f32 v[52:53], v[54:55], s[2:3], v[52:53] op_sel_hi:[1,0,1]
	v_pk_fma_f32 v[42:43], v[40:41], s[2:3], v[26:27] op_sel_hi:[1,0,1]
	v_pk_add_f32 v[26:27], v[60:61], v[68:69]
	v_pk_mul_f32 v[56:57], v[52:53], s[4:5] op_sel_hi:[1,0]
	v_pk_fma_f32 v[26:27], v[26:27], 0.5, v[72:73] op_sel_hi:[1,0,1] neg_lo:[1,0,0] neg_hi:[1,0,0]
	v_pk_fma_f32 v[60:61], v[52:53], s[2:3], v[56:57] op_sel:[0,0,1] op_sel_hi:[1,0,0]
	v_pk_fma_f32 v[52:53], v[52:53], s[2:3], v[56:57] op_sel:[0,0,1] op_sel_hi:[1,0,0] neg_lo:[0,0,1] neg_hi:[0,0,1]
	v_pk_mul_f32 v[32:33], v[32:33], s[4:5] op_sel_hi:[1,0]
	v_mov_b32_e32 v61, v53
	v_pk_mul_f32 v[24:25], v[24:25], s[8:9] op_sel_hi:[1,0]
	v_pk_add_f32 v[52:53], v[26:27], v[32:33] op_sel:[0,1] op_sel_hi:[1,0] neg_lo:[0,1] neg_hi:[0,1]
	v_pk_add_f32 v[26:27], v[26:27], v[32:33] op_sel:[0,1] op_sel_hi:[1,0]
	v_pk_add_f32 v[28:29], v[20:21], v[68:69]
	v_pk_add_f32 v[20:21], v[0:1], v[4:5]
	v_pk_add_f32 v[26:27], v[26:27], v[24:25] op_sel:[0,1] op_sel_hi:[1,0] neg_lo:[0,1] neg_hi:[0,1]
	v_pk_add_f32 v[32:33], v[52:53], v[24:25] op_sel:[0,1] op_sel_hi:[1,0]
	v_pk_add_f32 v[20:21], v[20:21], v[8:9]
	v_mov_b32_e32 v24, v32
	v_mov_b32_e32 v25, v27
	;; [unrolled: 1-line block ×3, first 2 shown]
	v_pk_add_f32 v[32:33], v[8:9], v[12:13]
	v_pk_add_f32 v[4:5], v[4:5], v[8:9] neg_lo:[0,1] neg_hi:[0,1]
	v_pk_add_f32 v[8:9], v[16:17], v[12:13] neg_lo:[0,1] neg_hi:[0,1]
	v_pk_add_f32 v[20:21], v[20:21], v[12:13]
	v_pk_fma_f32 v[0:1], v[32:33], 0.5, v[0:1] op_sel_hi:[1,0,1] neg_lo:[1,0,0] neg_hi:[1,0,0]
	v_pk_add_f32 v[4:5], v[4:5], v[8:9]
	v_mov_b32_e32 v23, v39
	v_pk_mul_f32 v[8:9], v[44:45], s[4:5] op_sel_hi:[1,0]
	v_pk_add_f32 v[30:31], v[20:21], v[16:17]
	v_pk_fma_f32 v[12:13], v[40:41], s[2:3], v[22:23] op_sel_hi:[1,0,1]
	v_pk_add_f32 v[16:17], v[0:1], v[8:9] op_sel:[0,1] op_sel_hi:[1,0]
	v_pk_mul_f32 v[22:23], v[46:47], s[8:9] op_sel_hi:[1,0]
	v_pk_add_f32 v[0:1], v[0:1], v[8:9] op_sel:[0,1] op_sel_hi:[1,0] neg_lo:[0,1] neg_hi:[0,1]
	v_pk_add_f32 v[16:17], v[22:23], v[16:17] op_sel:[1,0] op_sel_hi:[0,1]
	v_pk_add_f32 v[0:1], v[0:1], v[22:23] op_sel:[0,1] op_sel_hi:[1,0] neg_lo:[0,1] neg_hi:[0,1]
	v_pk_fma_f32 v[32:33], v[4:5], s[2:3], v[16:17] op_sel_hi:[1,0,1]
	v_pk_fma_f32 v[8:9], v[4:5], s[2:3], v[0:1] op_sel_hi:[1,0,1]
	v_mov_b32_e32 v1, v17
	v_pk_fma_f32 v[0:1], v[4:5], s[2:3], v[0:1] op_sel_hi:[1,0,1]
	s_mov_b32 s9, s10
	v_pk_mul_f32 v[4:5], v[0:1], s[10:11] op_sel_hi:[1,0]
	s_mov_b32 s11, s8
	v_pk_fma_f32 v[0:1], v[0:1], s[14:15], v[4:5] op_sel:[0,0,1] op_sel_hi:[1,1,0] neg_lo:[0,0,1] neg_hi:[0,0,1]
	v_pk_mul_f32 v[4:5], v[32:33], s[10:11] op_sel_hi:[0,1]
	v_mov_b32_e32 v49, v51
	v_pk_fma_f32 v[16:17], v[8:9], s[8:9], v[4:5] op_sel:[1,0,0]
	v_pk_fma_f32 v[4:5], v[8:9], s[8:9], v[4:5] op_sel:[1,0,0] neg_lo:[0,0,1] neg_hi:[0,0,1]
	v_pk_fma_f32 v[48:49], v[54:55], s[2:3], v[48:49] op_sel_hi:[1,0,1]
	v_mov_b32_e32 v17, v5
	v_pk_add_f32 v[8:9], v[12:13], v[0:1] op_sel:[1,0] op_sel_hi:[0,1]
	v_pk_add_f32 v[4:5], v[12:13], v[0:1] op_sel:[1,0] op_sel_hi:[0,1] neg_lo:[0,1] neg_hi:[0,1]
	v_mul_u32_u24_e32 v0, 10, v90
	v_pk_mul_f32 v[50:51], v[48:49], s[2:3] op_sel_hi:[1,0]
	v_lshlrev_b32_e32 v100, 3, v0
	v_add_u32_e32 v0, 0x1c00, v246
	v_pk_add_f32 v[20:21], v[28:29], v[30:31]
	v_pk_fma_f32 v[52:53], v[36:37], s[2:3], v[24:25] op_sel_hi:[1,0,1]
	v_pk_fma_f32 v[48:49], v[48:49], s[12:13], v[50:51] op_sel:[0,0,1] op_sel_hi:[1,1,0] neg_lo:[0,0,1] neg_hi:[0,0,1]
	v_pk_fma_f32 v[50:51], v[36:37], s[2:3], v[26:27] op_sel_hi:[1,0,1]
	v_pk_add_f32 v[22:23], v[42:43], v[16:17]
	v_pk_add_f32 v[36:37], v[28:29], v[30:31] neg_lo:[0,1] neg_hi:[0,1]
	v_pk_add_f32 v[30:31], v[42:43], v[16:17] neg_lo:[0,1] neg_hi:[0,1]
	ds_read2_b64 v[42:45], v0 offset0:64 offset1:184
	v_mov_b32_e32 v255, v0
	v_add_u32_e32 v0, 0x4800, v246
	v_pk_add_f32 v[24:25], v[52:53], v[60:61]
	v_pk_add_f32 v[26:27], v[50:51], v[48:49] op_sel:[0,1] op_sel_hi:[1,0]
	v_pk_add_f32 v[32:33], v[52:53], v[60:61] neg_lo:[0,1] neg_hi:[0,1]
	v_pk_add_f32 v[28:29], v[50:51], v[48:49] op_sel:[0,1] op_sel_hi:[1,0] neg_lo:[0,1] neg_hi:[0,1]
	ds_read2_b64 v[50:53], v0 offset0:96 offset1:216
	v_mov_b32_e32 v89, v0
	v_add_u32_e32 v0, 0x6000, v246
	ds_read2_b64 v[46:49], v251 offset0:16 offset1:136
	ds_read2_b64 v[54:57], v0 offset0:48 offset1:168
	v_pk_add_f32 v[64:65], v[62:63], v[34:35]
	v_pk_add_f32 v[74:75], v[58:59], v[66:67] neg_lo:[0,1] neg_hi:[0,1]
	ds_read2_b64 v[38:41], v226 offset0:112 offset1:232
	v_pk_fma_f32 v[64:65], v[64:65], 0.5, v[70:71] op_sel_hi:[1,0,1] neg_lo:[1,0,0] neg_hi:[1,0,0]
	v_pk_mul_f32 v[76:77], v[74:75], s[4:5] op_sel_hi:[1,0]
	v_pk_add_f32 v[78:79], v[62:63], v[34:35] neg_lo:[0,1] neg_hi:[0,1]
	v_pk_add_f32 v[82:83], v[58:59], v[62:63] neg_lo:[0,1] neg_hi:[0,1]
	v_pk_add_f32 v[84:85], v[66:67], v[34:35] neg_lo:[0,1] neg_hi:[0,1]
	v_pk_add_f32 v[60:61], v[70:71], v[58:59]
	v_pk_mul_f32 v[80:81], v[78:79], s[8:9] op_sel_hi:[1,0]
	v_pk_add_f32 v[82:83], v[82:83], v[84:85]
	v_pk_add_f32 v[84:85], v[64:65], v[76:77] op_sel:[0,1] op_sel_hi:[1,0]
	v_pk_add_f32 v[64:65], v[64:65], v[76:77] op_sel:[0,1] op_sel_hi:[1,0] neg_lo:[0,1] neg_hi:[0,1]
	v_pk_add_f32 v[60:61], v[60:61], v[62:63]
	v_pk_add_f32 v[76:77], v[64:65], v[80:81] op_sel:[0,1] op_sel_hi:[1,0] neg_lo:[0,1] neg_hi:[0,1]
	v_pk_add_f32 v[80:81], v[84:85], v[80:81] op_sel:[0,1] op_sel_hi:[1,0]
	v_pk_add_f32 v[60:61], v[60:61], v[34:35]
	v_mov_b32_e32 v64, v80
	v_mov_b32_e32 v65, v77
	v_pk_add_f32 v[68:69], v[60:61], v[66:67]
	v_pk_fma_f32 v[84:85], v[82:83], s[2:3], v[64:65] op_sel_hi:[1,0,1]
	v_pk_add_f32 v[64:65], v[58:59], v[66:67]
	v_pk_add_f32 v[58:59], v[62:63], v[58:59] neg_lo:[0,1] neg_hi:[0,1]
	v_pk_add_f32 v[34:35], v[34:35], v[66:67] neg_lo:[0,1] neg_hi:[0,1]
	s_waitcnt lgkmcnt(2)
	v_pk_add_f32 v[66:67], v[48:49], v[52:53] neg_lo:[0,1] neg_hi:[0,1]
	s_waitcnt lgkmcnt(1)
	v_pk_add_f32 v[62:63], v[44:45], v[56:57]
	v_pk_fma_f32 v[64:65], v[64:65], 0.5, v[70:71] op_sel_hi:[1,0,1] neg_lo:[1,0,0] neg_hi:[1,0,0]
	v_pk_add_f32 v[34:35], v[58:59], v[34:35]
	v_pk_add_f32 v[58:59], v[44:45], v[56:57] neg_lo:[0,1] neg_hi:[0,1]
	s_waitcnt lgkmcnt(0)
	v_pk_fma_f32 v[62:63], v[62:63], 0.5, v[40:41] op_sel_hi:[1,0,1] neg_lo:[1,0,0] neg_hi:[1,0,0]
	v_pk_mul_f32 v[70:71], v[66:67], s[4:5] op_sel_hi:[1,0]
	v_pk_add_f32 v[92:93], v[48:49], v[44:45] neg_lo:[0,1] neg_hi:[0,1]
	v_pk_add_f32 v[96:97], v[52:53], v[56:57] neg_lo:[0,1] neg_hi:[0,1]
	v_pk_mul_f32 v[86:87], v[58:59], s[8:9] op_sel_hi:[1,0]
	v_pk_add_f32 v[92:93], v[92:93], v[96:97]
	v_pk_add_f32 v[96:97], v[62:63], v[70:71] op_sel:[0,1] op_sel_hi:[1,0] neg_lo:[0,1] neg_hi:[0,1]
	v_pk_add_f32 v[62:63], v[62:63], v[70:71] op_sel:[0,1] op_sel_hi:[1,0]
	v_pk_mul_f32 v[74:75], v[74:75], s[8:9] op_sel_hi:[1,0]
	v_pk_add_f32 v[70:71], v[62:63], v[86:87] op_sel:[0,1] op_sel_hi:[1,0] neg_lo:[0,1] neg_hi:[0,1]
	v_pk_add_f32 v[86:87], v[96:97], v[86:87] op_sel:[0,1] op_sel_hi:[1,0]
	v_mov_b32_e32 v63, v71
	v_mov_b32_e32 v62, v86
	v_pk_fma_f32 v[62:63], v[92:93], s[2:3], v[62:63] op_sel_hi:[1,0,1]
	v_mov_b32_e32 v71, v87
	v_pk_mul_f32 v[96:97], v[62:63], s[4:5] op_sel_hi:[1,0]
	v_pk_fma_f32 v[70:71], v[92:93], s[2:3], v[70:71] op_sel_hi:[1,0,1]
	v_pk_fma_f32 v[98:99], v[62:63], s[2:3], v[96:97] op_sel:[0,0,1] op_sel_hi:[1,0,0]
	v_pk_fma_f32 v[62:63], v[62:63], s[2:3], v[96:97] op_sel:[0,0,1] op_sel_hi:[1,0,0] neg_lo:[0,0,1] neg_hi:[0,0,1]
	v_pk_mul_f32 v[86:87], v[70:71], s[2:3] op_sel_hi:[1,0]
	v_mov_b32_e32 v99, v63
	v_pk_mul_f32 v[62:63], v[78:79], s[4:5] op_sel_hi:[1,0]
	v_pk_fma_f32 v[70:71], v[70:71], s[12:13], v[86:87] op_sel:[0,0,1] op_sel_hi:[1,1,0] neg_lo:[0,0,1] neg_hi:[0,0,1]
	v_pk_add_f32 v[78:79], v[64:65], v[62:63] op_sel:[0,1] op_sel_hi:[1,0] neg_lo:[0,1] neg_hi:[0,1]
	v_pk_add_f32 v[62:63], v[64:65], v[62:63] op_sel:[0,1] op_sel_hi:[1,0]
	v_pk_add_f32 v[60:61], v[40:41], v[44:45]
	v_pk_add_f32 v[64:65], v[62:63], v[74:75] op_sel:[0,1] op_sel_hi:[1,0] neg_lo:[0,1] neg_hi:[0,1]
	v_pk_add_f32 v[74:75], v[78:79], v[74:75] op_sel:[0,1] op_sel_hi:[1,0]
	v_mov_b32_e32 v63, v65
	v_mov_b32_e32 v62, v74
	;; [unrolled: 1-line block ×3, first 2 shown]
	v_pk_fma_f32 v[78:79], v[34:35], s[2:3], v[62:63] op_sel_hi:[1,0,1]
	v_pk_fma_f32 v[34:35], v[34:35], s[2:3], v[64:65] op_sel_hi:[1,0,1]
	v_pk_add_f32 v[62:63], v[78:79], v[98:99]
	v_pk_add_f32 v[64:65], v[34:35], v[70:71] op_sel:[0,1] op_sel_hi:[1,0]
	v_pk_add_f32 v[60:61], v[60:61], v[48:49]
	s_barrier
	ds_write_b128 v95, v[62:65] offset:16
	v_pk_add_f32 v[62:63], v[48:49], v[52:53]
	v_pk_add_f32 v[60:61], v[60:61], v[52:53]
	v_pk_fma_f32 v[40:41], v[62:63], 0.5, v[40:41] op_sel_hi:[1,0,1] neg_lo:[1,0,0] neg_hi:[1,0,0]
	v_pk_add_f32 v[44:45], v[44:45], v[48:49] neg_lo:[0,1] neg_hi:[0,1]
	v_pk_add_f32 v[48:49], v[56:57], v[52:53] neg_lo:[0,1] neg_hi:[0,1]
	v_pk_mul_f32 v[52:53], v[58:59], s[4:5] op_sel_hi:[1,0]
	v_pk_add_f32 v[72:73], v[60:61], v[56:57]
	v_pk_add_f32 v[56:57], v[40:41], v[52:53] op_sel:[0,1] op_sel_hi:[1,0]
	v_pk_mul_f32 v[58:59], v[66:67], s[8:9] op_sel_hi:[1,0]
	v_pk_add_f32 v[40:41], v[40:41], v[52:53] op_sel:[0,1] op_sel_hi:[1,0] neg_lo:[0,1] neg_hi:[0,1]
	v_pk_add_f32 v[44:45], v[44:45], v[48:49]
	v_pk_add_f32 v[56:57], v[58:59], v[56:57] op_sel:[1,0] op_sel_hi:[0,1]
	v_pk_add_f32 v[40:41], v[40:41], v[58:59] op_sel:[0,1] op_sel_hi:[1,0] neg_lo:[0,1] neg_hi:[0,1]
	v_pk_fma_f32 v[62:63], v[44:45], s[2:3], v[56:57] op_sel_hi:[1,0,1]
	v_pk_fma_f32 v[52:53], v[44:45], s[2:3], v[40:41] op_sel_hi:[1,0,1]
	v_mov_b32_e32 v41, v57
	v_pk_fma_f32 v[40:41], v[44:45], s[2:3], v[40:41] op_sel_hi:[1,0,1]
	v_mov_b32_e32 v77, v81
	v_pk_mul_f32 v[44:45], v[40:41], s[10:11] op_sel_hi:[1,0]
	v_pk_fma_f32 v[48:49], v[82:83], s[2:3], v[76:77] op_sel_hi:[1,0,1]
	v_pk_fma_f32 v[40:41], v[40:41], s[14:15], v[44:45] op_sel:[0,0,1] op_sel_hi:[1,1,0] neg_lo:[0,0,1] neg_hi:[0,0,1]
	v_pk_mul_f32 v[44:45], v[62:63], s[10:11] op_sel_hi:[0,1]
	v_pk_fma_f32 v[64:65], v[52:53], s[8:9], v[44:45] op_sel:[1,0,0]
	v_pk_fma_f32 v[44:45], v[52:53], s[8:9], v[44:45] op_sel:[1,0,0] neg_lo:[0,0,1] neg_hi:[0,0,1]
	v_pk_add_f32 v[58:59], v[68:69], v[72:73] neg_lo:[0,1] neg_hi:[0,1]
	v_mov_b32_e32 v65, v45
	v_pk_add_f32 v[44:45], v[48:49], v[40:41] op_sel:[1,0] op_sel_hi:[0,1]
	v_mov_b32_e32 v56, v45
	v_mov_b32_e32 v57, v44
	ds_write_b128 v95, v[56:59] offset:32
	v_pk_add_f32 v[56:57], v[84:85], v[64:65] neg_lo:[0,1] neg_hi:[0,1]
	v_pk_add_f32 v[58:59], v[78:79], v[98:99] neg_lo:[0,1] neg_hi:[0,1]
	ds_write_b128 v95, v[56:59] offset:48
	v_pk_add_f32 v[56:57], v[34:35], v[70:71] op_sel:[0,1] op_sel_hi:[1,0] neg_lo:[0,1] neg_hi:[0,1]
	v_pk_add_f32 v[34:35], v[48:49], v[40:41] op_sel:[1,0] op_sel_hi:[0,1] neg_lo:[0,1] neg_hi:[0,1]
	v_pk_add_f32 v[60:61], v[68:69], v[72:73]
	v_pk_add_f32 v[62:63], v[84:85], v[64:65]
	v_mov_b32_e32 v58, v35
	v_mov_b32_e32 v59, v34
	;; [unrolled: 1-line block ×4, first 2 shown]
	ds_write_b128 v95, v[60:63]
	ds_write_b128 v95, v[56:59] offset:64
	ds_write_b128 v229, v[24:27] offset:16
	ds_write_b128 v229, v[20:23]
	ds_write_b128 v229, v[34:37] offset:32
	ds_write_b128 v229, v[30:33] offset:48
	v_mov_b32_e32 v30, v5
	v_mov_b32_e32 v31, v4
	v_pk_add_f32 v[4:5], v[46:47], v[50:51]
	v_pk_add_f32 v[8:9], v[42:43], v[54:55] neg_lo:[0,1] neg_hi:[0,1]
	ds_write_b128 v229, v[28:31] offset:64
	v_pk_fma_f32 v[4:5], v[4:5], 0.5, v[38:39] op_sel_hi:[1,0,1] neg_lo:[1,0,0] neg_hi:[1,0,0]
	v_pk_mul_f32 v[20:21], v[8:9], s[4:5] op_sel_hi:[1,0]
	v_pk_add_f32 v[22:23], v[46:47], v[50:51] neg_lo:[0,1] neg_hi:[0,1]
	v_pk_add_f32 v[26:27], v[42:43], v[46:47] neg_lo:[0,1] neg_hi:[0,1]
	;; [unrolled: 1-line block ×3, first 2 shown]
	v_pk_mul_f32 v[24:25], v[22:23], s[8:9] op_sel_hi:[1,0]
	v_pk_add_f32 v[26:27], v[26:27], v[28:29]
	v_pk_add_f32 v[28:29], v[4:5], v[20:21] op_sel:[0,1] op_sel_hi:[1,0]
	v_pk_add_f32 v[4:5], v[4:5], v[20:21] op_sel:[0,1] op_sel_hi:[1,0] neg_lo:[0,1] neg_hi:[0,1]
	v_pk_add_f32 v[30:31], v[46:47], v[42:43] neg_lo:[0,1] neg_hi:[0,1]
	v_pk_add_f32 v[4:5], v[4:5], v[24:25] op_sel:[0,1] op_sel_hi:[1,0] neg_lo:[0,1] neg_hi:[0,1]
	v_pk_add_f32 v[24:25], v[28:29], v[24:25] op_sel:[0,1] op_sel_hi:[1,0]
	v_mov_b32_e32 v21, v5
	v_mov_b32_e32 v20, v24
	v_pk_fma_f32 v[28:29], v[26:27], s[2:3], v[20:21] op_sel_hi:[1,0,1]
	v_pk_add_f32 v[20:21], v[42:43], v[54:55]
	v_pk_add_f32 v[32:33], v[50:51], v[54:55] neg_lo:[0,1] neg_hi:[0,1]
	v_pk_add_f32 v[34:35], v[10:11], v[14:15] neg_lo:[0,1] neg_hi:[0,1]
	v_pk_add_f32 v[36:37], v[6:7], v[18:19]
	v_mov_b32_e32 v253, v0
	v_pk_add_f32 v[0:1], v[38:39], v[42:43]
	v_pk_fma_f32 v[20:21], v[20:21], 0.5, v[38:39] op_sel_hi:[1,0,1] neg_lo:[1,0,0] neg_hi:[1,0,0]
	v_pk_add_f32 v[30:31], v[30:31], v[32:33]
	v_pk_add_f32 v[32:33], v[6:7], v[18:19] neg_lo:[0,1] neg_hi:[0,1]
	v_pk_fma_f32 v[36:37], v[36:37], 0.5, v[2:3] op_sel_hi:[1,0,1] neg_lo:[1,0,0] neg_hi:[1,0,0]
	v_pk_mul_f32 v[38:39], v[34:35], s[4:5] op_sel_hi:[1,0]
	v_pk_add_f32 v[42:43], v[10:11], v[6:7] neg_lo:[0,1] neg_hi:[0,1]
	v_pk_add_f32 v[44:45], v[14:15], v[18:19] neg_lo:[0,1] neg_hi:[0,1]
	v_pk_mul_f32 v[40:41], v[32:33], s[8:9] op_sel_hi:[1,0]
	v_pk_add_f32 v[42:43], v[42:43], v[44:45]
	v_pk_add_f32 v[44:45], v[36:37], v[38:39] op_sel:[0,1] op_sel_hi:[1,0] neg_lo:[0,1] neg_hi:[0,1]
	v_pk_add_f32 v[36:37], v[36:37], v[38:39] op_sel:[0,1] op_sel_hi:[1,0]
	v_pk_add_f32 v[38:39], v[44:45], v[40:41] op_sel:[0,1] op_sel_hi:[1,0]
	v_pk_add_f32 v[36:37], v[36:37], v[40:41] op_sel:[0,1] op_sel_hi:[1,0] neg_lo:[0,1] neg_hi:[0,1]
	v_mov_b32_e32 v40, v38
	v_mov_b32_e32 v41, v37
	v_pk_fma_f32 v[40:41], v[42:43], s[2:3], v[40:41] op_sel_hi:[1,0,1]
	v_pk_add_f32 v[0:1], v[0:1], v[46:47]
	v_pk_mul_f32 v[44:45], v[40:41], s[4:5] op_sel_hi:[1,0]
	v_pk_mul_f32 v[22:23], v[22:23], s[4:5] op_sel_hi:[1,0]
	v_pk_fma_f32 v[46:47], v[40:41], s[2:3], v[44:45] op_sel:[0,0,1] op_sel_hi:[1,0,0]
	v_pk_fma_f32 v[40:41], v[40:41], s[2:3], v[44:45] op_sel:[0,0,1] op_sel_hi:[1,0,0] neg_lo:[0,0,1] neg_hi:[0,0,1]
	v_pk_mul_f32 v[8:9], v[8:9], s[8:9] op_sel_hi:[1,0]
	v_mov_b32_e32 v47, v41
	v_pk_add_f32 v[40:41], v[20:21], v[22:23] op_sel:[0,1] op_sel_hi:[1,0] neg_lo:[0,1] neg_hi:[0,1]
	v_pk_add_f32 v[20:21], v[20:21], v[22:23] op_sel:[0,1] op_sel_hi:[1,0]
	v_mov_b32_e32 v37, v39
	v_pk_add_f32 v[22:23], v[20:21], v[8:9] op_sel:[0,1] op_sel_hi:[1,0] neg_lo:[0,1] neg_hi:[0,1]
	v_pk_add_f32 v[8:9], v[40:41], v[8:9] op_sel:[0,1] op_sel_hi:[1,0]
	v_pk_fma_f32 v[36:37], v[42:43], s[2:3], v[36:37] op_sel_hi:[1,0,1]
	v_mov_b32_e32 v20, v8
	v_mov_b32_e32 v21, v23
	v_pk_mul_f32 v[38:39], v[36:37], s[2:3] op_sel_hi:[1,0]
	v_mov_b32_e32 v23, v9
	v_pk_add_f32 v[0:1], v[0:1], v[50:51]
	v_pk_fma_f32 v[40:41], v[30:31], s[2:3], v[20:21] op_sel_hi:[1,0,1]
	v_pk_fma_f32 v[36:37], v[36:37], s[12:13], v[38:39] op_sel:[0,0,1] op_sel_hi:[1,1,0] neg_lo:[0,0,1] neg_hi:[0,0,1]
	v_pk_fma_f32 v[8:9], v[30:31], s[2:3], v[22:23] op_sel_hi:[1,0,1]
	v_pk_add_f32 v[12:13], v[0:1], v[54:55]
	v_pk_add_f32 v[0:1], v[2:3], v[6:7]
	v_pk_add_f32 v[20:21], v[40:41], v[46:47]
	v_pk_add_f32 v[22:23], v[8:9], v[36:37] op_sel:[0,1] op_sel_hi:[1,0]
	v_pk_add_f32 v[0:1], v[0:1], v[10:11]
	ds_write_b128 v100, v[20:23] offset:16
	v_pk_add_f32 v[20:21], v[10:11], v[14:15]
	v_pk_add_f32 v[6:7], v[6:7], v[10:11] neg_lo:[0,1] neg_hi:[0,1]
	v_pk_add_f32 v[10:11], v[18:19], v[14:15] neg_lo:[0,1] neg_hi:[0,1]
	v_pk_add_f32 v[0:1], v[0:1], v[14:15]
	v_pk_fma_f32 v[2:3], v[20:21], 0.5, v[2:3] op_sel_hi:[1,0,1] neg_lo:[1,0,0] neg_hi:[1,0,0]
	v_pk_add_f32 v[6:7], v[6:7], v[10:11]
	v_pk_mul_f32 v[10:11], v[32:33], s[4:5] op_sel_hi:[1,0]
	v_pk_add_f32 v[16:17], v[0:1], v[18:19]
	v_pk_add_f32 v[14:15], v[2:3], v[10:11] op_sel:[0,1] op_sel_hi:[1,0]
	v_pk_mul_f32 v[18:19], v[34:35], s[8:9] op_sel_hi:[1,0]
	v_pk_add_f32 v[2:3], v[2:3], v[10:11] op_sel:[0,1] op_sel_hi:[1,0] neg_lo:[0,1] neg_hi:[0,1]
	v_pk_add_f32 v[14:15], v[18:19], v[14:15] op_sel:[1,0] op_sel_hi:[0,1]
	v_pk_add_f32 v[2:3], v[2:3], v[18:19] op_sel:[0,1] op_sel_hi:[1,0] neg_lo:[0,1] neg_hi:[0,1]
	v_pk_fma_f32 v[20:21], v[6:7], s[2:3], v[14:15] op_sel_hi:[1,0,1]
	v_pk_fma_f32 v[10:11], v[6:7], s[2:3], v[2:3] op_sel_hi:[1,0,1]
	v_mov_b32_e32 v3, v15
	v_pk_fma_f32 v[2:3], v[6:7], s[2:3], v[2:3] op_sel_hi:[1,0,1]
	v_mov_b32_e32 v5, v25
	v_pk_mul_f32 v[6:7], v[2:3], s[10:11] op_sel_hi:[1,0]
	v_pk_fma_f32 v[4:5], v[26:27], s[2:3], v[4:5] op_sel_hi:[1,0,1]
	v_pk_fma_f32 v[6:7], v[2:3], s[14:15], v[6:7] op_sel:[0,0,1] op_sel_hi:[1,1,0] neg_lo:[0,0,1] neg_hi:[0,0,1]
	v_pk_mul_f32 v[2:3], v[20:21], s[10:11] op_sel_hi:[0,1]
	v_pk_fma_f32 v[14:15], v[10:11], s[8:9], v[2:3] op_sel:[1,0,0]
	v_pk_fma_f32 v[2:3], v[10:11], s[8:9], v[2:3] op_sel:[1,0,0] neg_lo:[0,0,1] neg_hi:[0,0,1]
	v_pk_add_f32 v[0:1], v[12:13], v[16:17]
	v_mov_b32_e32 v15, v3
	v_pk_add_f32 v[2:3], v[28:29], v[14:15]
	v_pk_add_f32 v[10:11], v[4:5], v[6:7] op_sel:[1,0] op_sel_hi:[0,1]
	ds_write_b128 v100, v[0:3]
	v_pk_add_f32 v[2:3], v[12:13], v[16:17] neg_lo:[0,1] neg_hi:[0,1]
	v_mov_b32_e32 v0, v11
	v_mov_b32_e32 v1, v10
	ds_write_b128 v100, v[0:3] offset:32
	v_pk_add_f32 v[0:1], v[28:29], v[14:15] neg_lo:[0,1] neg_hi:[0,1]
	v_pk_add_f32 v[2:3], v[40:41], v[46:47] neg_lo:[0,1] neg_hi:[0,1]
	v_pk_add_f32 v[4:5], v[4:5], v[6:7] op_sel:[1,0] op_sel_hi:[0,1] neg_lo:[0,1] neg_hi:[0,1]
	ds_write_b128 v100, v[0:3] offset:48
	v_pk_add_f32 v[0:1], v[8:9], v[36:37] op_sel:[0,1] op_sel_hi:[1,0] neg_lo:[0,1] neg_hi:[0,1]
	v_mov_b32_e32 v2, v5
	v_mov_b32_e32 v3, v4
	s_movk_i32 s5, 0xcd
	ds_write_b128 v100, v[0:3] offset:64
	v_mul_lo_u16_sdwa v0, v228, s5 dst_sel:DWORD dst_unused:UNUSED_PAD src0_sel:BYTE_0 src1_sel:DWORD
	v_lshrrev_b16_e32 v4, 11, v0
	v_mul_lo_u16_e32 v0, 10, v4
	v_sub_u16_e32 v0, v228, v0
	v_and_b32_e32 v5, 0xff, v0
	v_mov_b64_e32 v[0:1], s[6:7]
	v_mad_u64_u32 v[2:3], s[24:25], v5, s23, v[0:1]
	s_waitcnt lgkmcnt(0)
	s_barrier
	global_load_dwordx4 v[72:75], v[2:3], off offset:48
	global_load_dwordx4 v[76:79], v[2:3], off offset:32
	;; [unrolled: 1-line block ×3, first 2 shown]
	global_load_dwordx4 v[84:87], v[2:3], off
	global_load_dwordx2 v[244:245], v[2:3], off offset:64
	v_mul_lo_u16_sdwa v2, v88, s5 dst_sel:DWORD dst_unused:UNUSED_PAD src0_sel:BYTE_0 src1_sel:DWORD
	v_lshrrev_b16_e32 v2, 11, v2
	v_mul_lo_u16_e32 v3, 10, v2
	v_sub_u16_e32 v3, v88, v3
	v_and_b32_e32 v3, 0xff, v3
	v_mad_u64_u32 v[0:1], s[24:25], v3, s23, v[0:1]
	s_mov_b32 s5, 0xcccd
	v_accvgpr_write_b32 a85, v100
	global_load_dwordx4 v[96:99], v[0:1], off offset:48
	global_load_dwordx4 v[100:103], v[0:1], off offset:32
	;; [unrolled: 1-line block ×3, first 2 shown]
	global_load_dwordx4 v[108:111], v[0:1], off
	global_load_dwordx2 v[212:213], v[0:1], off offset:64
	v_mul_u32_u24_sdwa v0, v90, s5 dst_sel:DWORD dst_unused:UNUSED_PAD src0_sel:WORD_0 src1_sel:DWORD
	v_lshrrev_b32_e32 v6, 19, v0
	v_mul_lo_u16_e32 v0, 10, v6
	v_sub_u16_e32 v7, v90, v0
	v_mul_lo_u16_e32 v0, 0x48, v7
	v_mov_b32_e32 v1, v247
	v_lshl_add_u64 v[0:1], s[6:7], 0, v[0:1]
	global_load_dwordx4 v[112:115], v[0:1], off offset:48
	global_load_dwordx4 v[116:119], v[0:1], off offset:32
	;; [unrolled: 1-line block ×3, first 2 shown]
	global_load_dwordx4 v[124:127], v[0:1], off
	global_load_dwordx2 v[210:211], v[0:1], off offset:64
	v_mul_u32_u24_e32 v0, 0x64, v4
	s_movk_i32 s23, 0x64
	v_add_lshl_u32 v183, v0, v5, 3
	v_mul_u32_u24_e32 v0, 0x64, v2
	v_add_lshl_u32 v182, v0, v3, 3
	v_mad_legacy_u16 v0, v6, s23, v7
	v_lshlrev_b32_e32 v181, 3, v0
	ds_read2_b64 v[0:3], v226 offset0:112 offset1:232
	ds_read2_b64 v[44:47], v227 offset0:96 offset1:216
	;; [unrolled: 1-line block ×10, first 2 shown]
	v_mov_b32_e32 v180, v89
	v_mov_b32_e32 v89, v129
	;; [unrolled: 1-line block ×3, first 2 shown]
	s_mov_b32 s24, s8
	s_mov_b32 s25, s14
	v_cmp_gt_u16_e32 vcc, s23, v228
	v_accvgpr_write_b32 a84, v183
	v_accvgpr_write_b32 a83, v182
	;; [unrolled: 1-line block ×3, first 2 shown]
	s_waitcnt vmcnt(14)
	v_accvgpr_write_b32 a136, v75
	s_waitcnt vmcnt(11) lgkmcnt(9)
	v_pk_mul_f32 v[146:147], v[2:3], v[84:85] op_sel:[0,1]
	s_nop 0
	v_pk_fma_f32 v[144:145], v[2:3], v[84:85], v[146:147] op_sel:[0,0,1] op_sel_hi:[1,1,0] neg_lo:[0,0,1] neg_hi:[0,0,1]
	v_pk_fma_f32 v[2:3], v[2:3], v[84:85], v[146:147] op_sel:[0,0,1] op_sel_hi:[1,0,0]
	s_waitcnt vmcnt(9)
	v_accvgpr_write_b32 a148, v99
	v_mov_b32_e32 v2, v87
	v_mov_b32_e32 v145, v3
	s_waitcnt vmcnt(6) lgkmcnt(8)
	v_pk_mul_f32 v[140:141], v[44:45], v[108:109] op_sel:[0,1]
	v_accvgpr_write_b32 a138, v111
	v_pk_fma_f32 v[138:139], v[44:45], v[108:109], v[140:141] op_sel:[0,0,1] op_sel_hi:[1,1,0] neg_lo:[0,0,1] neg_hi:[0,0,1]
	v_pk_fma_f32 v[44:45], v[44:45], v[108:109], v[140:141] op_sel:[0,0,1] op_sel_hi:[1,0,0]
	v_accvgpr_write_b32 a140, v107
	v_mov_b32_e32 v44, v111
	v_mov_b32_e32 v139, v45
	v_accvgpr_write_b32 a144, v103
	s_waitcnt vmcnt(1)
	v_pk_mul_f32 v[4:5], v[46:47], v[124:125] op_sel_hi:[1,0]
	v_mov_b32_e32 v26, v125
	v_pk_fma_f32 v[50:51], v[46:47], v[26:27], v[4:5] op_sel:[0,0,1] op_sel_hi:[1,1,0]
	v_pk_fma_f32 v[4:5], v[46:47], v[124:125], v[4:5] op_sel:[0,1,1] op_sel_hi:[1,1,0] neg_lo:[1,0,0] neg_hi:[1,0,0]
	v_mov_b32_e32 v26, v127
	v_mov_b32_e32 v51, v5
	s_waitcnt lgkmcnt(7)
	v_pk_mul_f32 v[4:5], v[18:19], v[26:27] op_sel_hi:[1,0]
	v_mov_b32_e32 v26, v123
	v_pk_fma_f32 v[52:53], v[18:19], v[126:127], v[4:5] op_sel:[0,0,1] op_sel_hi:[1,1,0] neg_lo:[0,0,1] neg_hi:[0,0,1]
	v_pk_fma_f32 v[4:5], v[18:19], v[126:127], v[4:5] op_sel:[0,0,1] op_sel_hi:[1,0,0]
	v_mov_b32_e32 v18, v121
	v_mov_b32_e32 v53, v5
	s_waitcnt lgkmcnt(6)
	v_pk_mul_f32 v[4:5], v[40:41], v[120:121] op_sel_hi:[1,0]
	s_nop 0
	v_pk_fma_f32 v[18:19], v[40:41], v[18:19], v[4:5] op_sel:[0,0,1] op_sel_hi:[1,1,0]
	v_pk_fma_f32 v[4:5], v[40:41], v[120:121], v[4:5] op_sel:[0,1,1] op_sel_hi:[1,1,0] neg_lo:[1,0,0] neg_hi:[1,0,0]
	s_nop 0
	v_mov_b32_e32 v19, v5
	s_waitcnt lgkmcnt(5)
	v_pk_mul_f32 v[4:5], v[14:15], v[26:27] op_sel_hi:[1,0]
	v_mov_b32_e32 v26, v119
	v_pk_fma_f32 v[54:55], v[14:15], v[122:123], v[4:5] op_sel:[0,0,1] op_sel_hi:[1,1,0] neg_lo:[0,0,1] neg_hi:[0,0,1]
	v_pk_fma_f32 v[4:5], v[14:15], v[122:123], v[4:5] op_sel:[0,0,1] op_sel_hi:[1,0,0]
	v_mov_b32_e32 v14, v117
	v_mov_b32_e32 v55, v5
	s_waitcnt lgkmcnt(4)
	v_pk_mul_f32 v[4:5], v[34:35], v[116:117] op_sel_hi:[1,0]
	s_nop 0
	v_pk_fma_f32 v[14:15], v[34:35], v[14:15], v[4:5] op_sel:[0,0,1] op_sel_hi:[1,1,0]
	v_pk_fma_f32 v[4:5], v[34:35], v[116:117], v[4:5] op_sel:[0,1,1] op_sel_hi:[1,1,0] neg_lo:[1,0,0] neg_hi:[1,0,0]
	s_nop 0
	v_mov_b32_e32 v15, v5
	s_waitcnt lgkmcnt(3)
	v_pk_mul_f32 v[4:5], v[10:11], v[26:27] op_sel_hi:[1,0]
	v_mov_b32_e32 v26, v115
	v_pk_fma_f32 v[56:57], v[10:11], v[118:119], v[4:5] op_sel:[0,0,1] op_sel_hi:[1,1,0] neg_lo:[0,0,1] neg_hi:[0,0,1]
	v_pk_fma_f32 v[4:5], v[10:11], v[118:119], v[4:5] op_sel:[0,0,1] op_sel_hi:[1,0,0]
	v_mov_b32_e32 v10, v113
	v_mov_b32_e32 v57, v5
	s_waitcnt lgkmcnt(2)
	v_pk_mul_f32 v[4:5], v[30:31], v[112:113] op_sel_hi:[1,0]
	v_pk_add_f32 v[68:69], v[54:55], v[56:57] neg_lo:[0,1] neg_hi:[0,1]
	v_pk_fma_f32 v[10:11], v[30:31], v[10:11], v[4:5] op_sel:[0,0,1] op_sel_hi:[1,1,0]
	v_pk_fma_f32 v[4:5], v[30:31], v[112:113], v[4:5] op_sel:[0,1,1] op_sel_hi:[1,1,0] neg_lo:[1,0,0] neg_hi:[1,0,0]
	s_nop 0
	v_mov_b32_e32 v11, v5
	s_waitcnt lgkmcnt(1)
	v_pk_mul_f32 v[4:5], v[6:7], v[26:27] op_sel_hi:[1,0]
	v_pk_add_f32 v[66:67], v[14:15], v[10:11] neg_lo:[0,1] neg_hi:[0,1]
	v_pk_fma_f32 v[58:59], v[6:7], v[114:115], v[4:5] op_sel:[0,0,1] op_sel_hi:[1,1,0] neg_lo:[0,0,1] neg_hi:[0,0,1]
	v_pk_fma_f32 v[4:5], v[6:7], v[114:115], v[4:5] op_sel:[0,0,1] op_sel_hi:[1,0,0]
	s_waitcnt vmcnt(0)
	v_mov_b32_e32 v6, v211
	v_mov_b32_e32 v59, v5
	s_waitcnt lgkmcnt(0)
	v_pk_mul_f32 v[4:5], v[24:25], v[210:211] op_sel_hi:[1,0]
	v_pk_add_f32 v[64:65], v[52:53], v[58:59] neg_lo:[0,1] neg_hi:[0,1]
	v_pk_fma_f32 v[60:61], v[24:25], v[6:7], v[4:5] op_sel:[0,0,1] op_sel_hi:[1,1,0]
	v_pk_fma_f32 v[4:5], v[24:25], v[210:211], v[4:5] op_sel:[0,1,1] op_sel_hi:[1,1,0] neg_lo:[1,0,0] neg_hi:[1,0,0]
	v_pk_add_f32 v[6:7], v[52:53], v[54:55] neg_lo:[0,1] neg_hi:[0,1]
	v_mov_b32_e32 v61, v5
	v_pk_add_f32 v[4:5], v[54:55], v[56:57]
	v_pk_add_f32 v[24:25], v[58:59], v[56:57] neg_lo:[0,1] neg_hi:[0,1]
	v_pk_fma_f32 v[4:5], v[4:5], 0.5, v[0:1] op_sel_hi:[1,0,1] neg_lo:[1,0,0] neg_hi:[1,0,0]
	v_pk_add_f32 v[70:71], v[6:7], v[24:25]
	v_pk_fma_f32 v[6:7], v[64:65], s[4:5], v[4:5] op_sel:[1,0,0] op_sel_hi:[0,0,1] neg_lo:[1,0,0] neg_hi:[1,0,0]
	v_pk_fma_f32 v[4:5], v[64:65], s[4:5], v[4:5] op_sel:[1,0,0] op_sel_hi:[0,0,1]
	v_pk_fma_f32 v[92:93], v[68:69], s[8:9], v[4:5] op_sel:[1,0,0] op_sel_hi:[0,0,1]
	v_pk_fma_f32 v[148:149], v[68:69], s[8:9], v[6:7] op_sel:[1,0,0] op_sel_hi:[0,0,1] neg_lo:[1,0,0] neg_hi:[1,0,0]
	v_mov_b32_e32 v4, v148
	v_mov_b32_e32 v5, v93
	v_pk_fma_f32 v[134:135], v[70:71], s[2:3], v[4:5] op_sel_hi:[1,0,1]
	v_pk_add_f32 v[4:5], v[14:15], v[10:11]
	v_pk_add_f32 v[62:63], v[18:19], v[60:61] neg_lo:[0,1] neg_hi:[0,1]
	v_pk_fma_f32 v[4:5], v[4:5], 0.5, v[50:51] op_sel_hi:[1,0,1] neg_lo:[1,0,0] neg_hi:[1,0,0]
	v_pk_add_f32 v[6:7], v[18:19], v[14:15] neg_lo:[0,1] neg_hi:[0,1]
	v_pk_add_f32 v[24:25], v[60:61], v[10:11] neg_lo:[0,1] neg_hi:[0,1]
	v_mov_b32_e32 v93, v149
	v_pk_add_f32 v[128:129], v[6:7], v[24:25]
	v_pk_fma_f32 v[6:7], v[62:63], s[4:5], v[4:5] op_sel:[1,0,0] op_sel_hi:[0,0,1]
	v_pk_fma_f32 v[4:5], v[62:63], s[4:5], v[4:5] op_sel:[1,0,0] op_sel_hi:[0,0,1] neg_lo:[1,0,0] neg_hi:[1,0,0]
	v_pk_fma_f32 v[130:131], v[66:67], s[8:9], v[4:5] op_sel:[1,0,0] op_sel_hi:[0,0,1] neg_lo:[1,0,0] neg_hi:[1,0,0]
	v_pk_fma_f32 v[132:133], v[66:67], s[8:9], v[6:7] op_sel:[1,0,0] op_sel_hi:[0,0,1]
	v_mov_b32_e32 v4, v132
	v_mov_b32_e32 v5, v131
	v_pk_fma_f32 v[4:5], v[128:129], s[2:3], v[4:5] op_sel_hi:[1,0,1]
	v_mov_b32_e32 v132, v75
	v_pk_mul_f32 v[6:7], v[4:5], s[10:11] op_sel_hi:[1,0]
	v_mov_b32_e32 v131, v133
	v_pk_fma_f32 v[136:137], v[4:5], s[24:25], v[6:7] op_sel:[0,0,1] op_sel_hi:[1,1,0] neg_lo:[0,0,1] neg_hi:[0,0,1]
	ds_read2_b64 v[4:7], v246 offset1:120
	ds_read2_b64 v[46:49], v254 offset0:80 offset1:200
	ds_read2_b64 v[40:43], v250 offset0:32 offset1:152
	;; [unrolled: 1-line block ×4, first 2 shown]
	s_waitcnt lgkmcnt(0)
	v_pk_mul_f32 v[146:147], v[46:47], v[2:3] op_sel_hi:[1,0]
	v_pk_mul_f32 v[140:141], v[48:49], v[44:45] op_sel_hi:[1,0]
	v_pk_fma_f32 v[2:3], v[46:47], v[86:87], v[146:147] op_sel:[0,0,1] op_sel_hi:[1,1,0] neg_lo:[0,0,1] neg_hi:[0,0,1]
	v_pk_fma_f32 v[46:47], v[46:47], v[86:87], v[146:147] op_sel:[0,0,1] op_sel_hi:[1,0,0]
	v_pk_mul_f32 v[146:147], v[20:21], v[80:81] op_sel:[0,1]
	v_mov_b32_e32 v3, v47
	v_pk_fma_f32 v[46:47], v[20:21], v[80:81], v[146:147] op_sel:[0,0,1] op_sel_hi:[1,1,0] neg_lo:[0,0,1] neg_hi:[0,0,1]
	v_pk_fma_f32 v[20:21], v[20:21], v[80:81], v[146:147] op_sel:[0,0,1] op_sel_hi:[1,0,0]
	s_barrier
	v_mov_b32_e32 v20, v83
	v_pk_mul_f32 v[146:147], v[40:41], v[20:21] op_sel_hi:[1,0]
	v_mov_b32_e32 v47, v21
	v_pk_fma_f32 v[20:21], v[40:41], v[82:83], v[146:147] op_sel:[0,0,1] op_sel_hi:[1,1,0] neg_lo:[0,0,1] neg_hi:[0,0,1]
	v_pk_fma_f32 v[40:41], v[40:41], v[82:83], v[146:147] op_sel:[0,0,1] op_sel_hi:[1,0,0]
	v_pk_mul_f32 v[146:147], v[16:17], v[76:77] op_sel:[0,1]
	v_mov_b32_e32 v21, v41
	v_pk_fma_f32 v[40:41], v[16:17], v[76:77], v[146:147] op_sel:[0,0,1] op_sel_hi:[1,1,0] neg_lo:[0,0,1] neg_hi:[0,0,1]
	v_pk_fma_f32 v[16:17], v[16:17], v[76:77], v[146:147] op_sel:[0,0,1] op_sel_hi:[1,0,0]
	v_pk_add_f32 v[162:163], v[2:3], v[20:21] neg_lo:[0,1] neg_hi:[0,1]
	v_mov_b32_e32 v16, v79
	v_pk_mul_f32 v[146:147], v[34:35], v[16:17] op_sel_hi:[1,0]
	v_mov_b32_e32 v41, v17
	v_pk_fma_f32 v[16:17], v[34:35], v[78:79], v[146:147] op_sel:[0,0,1] op_sel_hi:[1,1,0] neg_lo:[0,0,1] neg_hi:[0,0,1]
	v_pk_fma_f32 v[34:35], v[34:35], v[78:79], v[146:147] op_sel:[0,0,1] op_sel_hi:[1,0,0]
	v_pk_mul_f32 v[146:147], v[12:13], v[72:73] op_sel:[0,1]
	v_mov_b32_e32 v17, v35
	v_pk_fma_f32 v[34:35], v[12:13], v[72:73], v[146:147] op_sel:[0,0,1] op_sel_hi:[1,1,0] neg_lo:[0,0,1] neg_hi:[0,0,1]
	v_pk_fma_f32 v[12:13], v[12:13], v[72:73], v[146:147] op_sel:[0,0,1] op_sel_hi:[1,0,0]
	v_pk_add_f32 v[152:153], v[20:21], v[16:17]
	v_mov_b32_e32 v35, v13
	v_pk_mul_f32 v[12:13], v[24:25], v[132:133] op_sel_hi:[1,0]
	v_pk_fma_f32 v[152:153], v[152:153], 0.5, v[4:5] op_sel_hi:[1,0,1] neg_lo:[1,0,0] neg_hi:[1,0,0]
	v_pk_fma_f32 v[146:147], v[24:25], v[74:75], v[12:13] op_sel:[0,0,1] op_sel_hi:[1,1,0] neg_lo:[0,0,1] neg_hi:[0,0,1]
	v_pk_fma_f32 v[12:13], v[24:25], v[74:75], v[12:13] op_sel:[0,0,1] op_sel_hi:[1,0,0]
	v_pk_add_f32 v[158:159], v[20:21], v[16:17] neg_lo:[0,1] neg_hi:[0,1]
	v_mov_b32_e32 v147, v13
	v_pk_mul_f32 v[12:13], v[8:9], v[244:245] op_sel:[0,1]
	v_pk_add_f32 v[154:155], v[2:3], v[146:147] neg_lo:[0,1] neg_hi:[0,1]
	v_pk_fma_f32 v[24:25], v[8:9], v[244:245], v[12:13] op_sel:[0,0,1] op_sel_hi:[1,1,0] neg_lo:[0,0,1] neg_hi:[0,0,1]
	v_pk_fma_f32 v[8:9], v[8:9], v[244:245], v[12:13] op_sel:[0,0,1] op_sel_hi:[1,0,0]
	v_pk_mul_f32 v[156:157], v[154:155], s[4:5] op_sel_hi:[1,0]
	v_pk_add_f32 v[164:165], v[146:147], v[16:17] neg_lo:[0,1] neg_hi:[0,1]
	v_mov_b32_e32 v25, v9
	v_pk_mul_f32 v[160:161], v[158:159], s[8:9] op_sel_hi:[1,0]
	v_pk_add_f32 v[162:163], v[162:163], v[164:165]
	v_pk_add_f32 v[164:165], v[152:153], v[156:157] op_sel:[0,1] op_sel_hi:[1,0]
	v_pk_add_f32 v[152:153], v[152:153], v[156:157] op_sel:[0,1] op_sel_hi:[1,0] neg_lo:[0,1] neg_hi:[0,1]
	v_pk_add_f32 v[156:157], v[164:165], v[160:161] op_sel:[0,1] op_sel_hi:[1,0]
	v_pk_add_f32 v[164:165], v[40:41], v[34:35]
	v_pk_add_f32 v[166:167], v[46:47], v[24:25] neg_lo:[0,1] neg_hi:[0,1]
	v_pk_fma_f32 v[164:165], v[164:165], 0.5, v[144:145] op_sel_hi:[1,0,1] neg_lo:[1,0,0] neg_hi:[1,0,0]
	v_pk_mul_f32 v[168:169], v[166:167], s[4:5] op_sel_hi:[1,0]
	v_pk_add_f32 v[170:171], v[40:41], v[34:35] neg_lo:[0,1] neg_hi:[0,1]
	v_pk_add_f32 v[174:175], v[46:47], v[40:41] neg_lo:[0,1] neg_hi:[0,1]
	;; [unrolled: 1-line block ×3, first 2 shown]
	v_pk_mul_f32 v[172:173], v[170:171], s[8:9] op_sel_hi:[1,0]
	v_pk_add_f32 v[174:175], v[174:175], v[176:177]
	v_pk_add_f32 v[176:177], v[164:165], v[168:169] op_sel:[0,1] op_sel_hi:[1,0]
	v_pk_add_f32 v[164:165], v[164:165], v[168:169] op_sel:[0,1] op_sel_hi:[1,0] neg_lo:[0,1] neg_hi:[0,1]
	v_pk_add_f32 v[168:169], v[176:177], v[172:173] op_sel:[0,1] op_sel_hi:[1,0]
	v_pk_add_f32 v[164:165], v[164:165], v[172:173] op_sel:[0,1] op_sel_hi:[1,0] neg_lo:[0,1] neg_hi:[0,1]
	v_mov_b32_e32 v172, v168
	v_mov_b32_e32 v173, v165
	v_pk_add_f32 v[8:9], v[4:5], v[2:3]
	v_pk_add_f32 v[12:13], v[144:145], v[46:47]
	v_pk_fma_f32 v[172:173], v[174:175], s[2:3], v[172:173] op_sel_hi:[1,0,1]
	v_pk_add_f32 v[8:9], v[8:9], v[20:21]
	v_pk_add_f32 v[12:13], v[12:13], v[40:41]
	v_pk_add_f32 v[152:153], v[152:153], v[160:161] op_sel:[0,1] op_sel_hi:[1,0] neg_lo:[0,1] neg_hi:[0,1]
	v_pk_mul_f32 v[176:177], v[172:173], s[8:9] op_sel_hi:[1,0]
	v_pk_add_f32 v[8:9], v[8:9], v[16:17]
	v_pk_add_f32 v[12:13], v[12:13], v[34:35]
	v_mov_b32_e32 v160, v156
	v_mov_b32_e32 v161, v153
	v_pk_fma_f32 v[178:179], v[172:173], s[10:11], v[176:177] op_sel:[0,0,1] op_sel_hi:[1,0,0]
	v_pk_fma_f32 v[172:173], v[172:173], s[10:11], v[176:177] op_sel:[0,0,1] op_sel_hi:[1,0,0] neg_lo:[0,0,1] neg_hi:[0,0,1]
	v_pk_add_f32 v[8:9], v[8:9], v[146:147]
	v_pk_add_f32 v[12:13], v[12:13], v[24:25]
	v_pk_fma_f32 v[160:161], v[162:163], s[2:3], v[160:161] op_sel_hi:[1,0,1]
	v_mov_b32_e32 v179, v173
	v_pk_add_f32 v[150:151], v[8:9], v[12:13]
	v_pk_add_f32 v[172:173], v[160:161], v[178:179]
	ds_write2_b64 v183, v[150:151], v[172:173] offset1:10
	v_pk_add_f32 v[150:151], v[2:3], v[146:147]
	v_pk_add_f32 v[2:3], v[20:21], v[2:3] neg_lo:[0,1] neg_hi:[0,1]
	v_pk_add_f32 v[16:17], v[16:17], v[146:147] neg_lo:[0,1] neg_hi:[0,1]
	v_pk_fma_f32 v[44:45], v[48:49], v[110:111], v[140:141] op_sel:[0,0,1] op_sel_hi:[1,1,0] neg_lo:[0,0,1] neg_hi:[0,0,1]
	v_pk_fma_f32 v[48:49], v[48:49], v[110:111], v[140:141] op_sel:[0,0,1] op_sel_hi:[1,0,0]
	v_pk_mul_f32 v[140:141], v[38:39], v[104:105] op_sel:[0,1]
	v_pk_add_f32 v[2:3], v[2:3], v[16:17]
	v_pk_add_f32 v[16:17], v[46:47], v[24:25]
	v_pk_add_f32 v[20:21], v[40:41], v[46:47] neg_lo:[0,1] neg_hi:[0,1]
	v_pk_add_f32 v[24:25], v[34:35], v[24:25] neg_lo:[0,1] neg_hi:[0,1]
	v_mov_b32_e32 v45, v49
	v_pk_fma_f32 v[48:49], v[38:39], v[104:105], v[140:141] op_sel:[0,0,1] op_sel_hi:[1,1,0] neg_lo:[0,0,1] neg_hi:[0,0,1]
	v_pk_fma_f32 v[38:39], v[38:39], v[104:105], v[140:141] op_sel:[0,0,1] op_sel_hi:[1,0,0]
	v_pk_fma_f32 v[4:5], v[150:151], 0.5, v[4:5] op_sel_hi:[1,0,1] neg_lo:[1,0,0] neg_hi:[1,0,0]
	v_pk_add_f32 v[20:21], v[20:21], v[24:25]
	v_pk_mul_f32 v[24:25], v[158:159], s[4:5] op_sel_hi:[1,0]
	v_mov_b32_e32 v38, v107
	v_pk_mul_f32 v[34:35], v[154:155], s[8:9] op_sel_hi:[1,0]
	v_pk_add_f32 v[40:41], v[4:5], v[24:25] op_sel:[0,1] op_sel_hi:[1,0] neg_lo:[0,1] neg_hi:[0,1]
	v_pk_mul_f32 v[140:141], v[42:43], v[38:39] op_sel_hi:[1,0]
	v_pk_fma_f32 v[16:17], v[16:17], 0.5, v[144:145] op_sel_hi:[1,0,1] neg_lo:[1,0,0] neg_hi:[1,0,0]
	v_pk_add_f32 v[4:5], v[4:5], v[24:25] op_sel:[0,1] op_sel_hi:[1,0]
	v_pk_add_f32 v[24:25], v[40:41], v[34:35] op_sel:[0,1] op_sel_hi:[1,0]
	v_pk_mul_f32 v[40:41], v[170:171], s[4:5] op_sel_hi:[1,0]
	v_mov_b32_e32 v49, v39
	v_pk_fma_f32 v[38:39], v[42:43], v[106:107], v[140:141] op_sel:[0,0,1] op_sel_hi:[1,1,0] neg_lo:[0,0,1] neg_hi:[0,0,1]
	v_pk_fma_f32 v[42:43], v[42:43], v[106:107], v[140:141] op_sel:[0,0,1] op_sel_hi:[1,0,0]
	v_pk_mul_f32 v[140:141], v[32:33], v[100:101] op_sel:[0,1]
	v_pk_mul_f32 v[46:47], v[166:167], s[8:9] op_sel_hi:[1,0]
	v_pk_add_f32 v[144:145], v[16:17], v[40:41] op_sel:[0,1] op_sel_hi:[1,0] neg_lo:[0,1] neg_hi:[0,1]
	v_pk_add_f32 v[16:17], v[16:17], v[40:41] op_sel:[0,1] op_sel_hi:[1,0]
	v_mov_b32_e32 v39, v43
	v_pk_fma_f32 v[42:43], v[32:33], v[100:101], v[140:141] op_sel:[0,0,1] op_sel_hi:[1,1,0] neg_lo:[0,0,1] neg_hi:[0,0,1]
	v_pk_fma_f32 v[32:33], v[32:33], v[100:101], v[140:141] op_sel:[0,0,1] op_sel_hi:[1,0,0]
	v_pk_add_f32 v[16:17], v[16:17], v[46:47] op_sel:[0,1] op_sel_hi:[1,0] neg_lo:[0,1] neg_hi:[0,1]
	v_pk_add_f32 v[40:41], v[144:145], v[46:47] op_sel:[0,1] op_sel_hi:[1,0]
	v_mov_b32_e32 v32, v103
	v_pk_add_f32 v[4:5], v[4:5], v[34:35] op_sel:[0,1] op_sel_hi:[1,0] neg_lo:[0,1] neg_hi:[0,1]
	v_mov_b32_e32 v46, v40
	v_mov_b32_e32 v47, v17
	v_pk_mul_f32 v[140:141], v[36:37], v[32:33] op_sel_hi:[1,0]
	v_mov_b32_e32 v34, v24
	v_mov_b32_e32 v35, v5
	v_pk_fma_f32 v[46:47], v[20:21], s[2:3], v[46:47] op_sel_hi:[1,0,1]
	v_mov_b32_e32 v5, v25
	v_mov_b32_e32 v17, v41
	v_mov_b32_e32 v43, v33
	v_pk_fma_f32 v[32:33], v[36:37], v[102:103], v[140:141] op_sel:[0,0,1] op_sel_hi:[1,1,0] neg_lo:[0,0,1] neg_hi:[0,0,1]
	v_pk_fma_f32 v[36:37], v[36:37], v[102:103], v[140:141] op_sel:[0,0,1] op_sel_hi:[1,0,0]
	v_pk_mul_f32 v[140:141], v[28:29], v[96:97] op_sel:[0,1]
	v_pk_fma_f32 v[34:35], v[2:3], s[2:3], v[34:35] op_sel_hi:[1,0,1]
	v_pk_mul_f32 v[144:145], v[46:47], s[4:5] op_sel_hi:[1,0]
	v_pk_fma_f32 v[2:3], v[2:3], s[2:3], v[4:5] op_sel_hi:[1,0,1]
	v_pk_fma_f32 v[4:5], v[20:21], s[2:3], v[16:17] op_sel_hi:[1,0,1]
	v_mov_b32_e32 v33, v37
	v_pk_fma_f32 v[36:37], v[28:29], v[96:97], v[140:141] op_sel:[0,0,1] op_sel_hi:[1,1,0] neg_lo:[0,0,1] neg_hi:[0,0,1]
	v_pk_fma_f32 v[28:29], v[28:29], v[96:97], v[140:141] op_sel:[0,0,1] op_sel_hi:[1,0,0]
	v_pk_fma_f32 v[146:147], v[46:47], s[2:3], v[144:145] op_sel:[0,0,1] op_sel_hi:[1,0,0]
	v_pk_fma_f32 v[46:47], v[46:47], s[2:3], v[144:145] op_sel:[0,0,1] op_sel_hi:[1,0,0] neg_lo:[0,0,1] neg_hi:[0,0,1]
	v_pk_mul_f32 v[16:17], v[4:5], s[2:3] op_sel_hi:[1,0]
	v_mov_b32_e32 v165, v169
	v_mov_b32_e32 v28, v99
	;; [unrolled: 1-line block ×3, first 2 shown]
	v_pk_fma_f32 v[4:5], v[4:5], s[12:13], v[16:17] op_sel:[0,0,1] op_sel_hi:[1,1,0] neg_lo:[0,0,1] neg_hi:[0,0,1]
	v_pk_fma_f32 v[20:21], v[174:175], s[2:3], v[164:165] op_sel_hi:[1,0,1]
	v_pk_mul_f32 v[140:141], v[26:27], v[28:29] op_sel_hi:[1,0]
	v_pk_add_f32 v[46:47], v[34:35], v[146:147]
	v_pk_add_f32 v[16:17], v[2:3], v[4:5] op_sel:[0,1] op_sel_hi:[1,0]
	v_mov_b32_e32 v153, v157
	v_pk_mul_f32 v[24:25], v[20:21], s[10:11] op_sel_hi:[1,0]
	v_mov_b32_e32 v37, v29
	v_pk_fma_f32 v[28:29], v[26:27], v[98:99], v[140:141] op_sel:[0,0,1] op_sel_hi:[1,1,0] neg_lo:[0,0,1] neg_hi:[0,0,1]
	v_pk_fma_f32 v[26:27], v[26:27], v[98:99], v[140:141] op_sel:[0,0,1] op_sel_hi:[1,0,0]
	ds_write2_b64 v183, v[46:47], v[16:17] offset0:20 offset1:30
	v_pk_fma_f32 v[16:17], v[162:163], s[2:3], v[152:153] op_sel_hi:[1,0,1]
	v_pk_fma_f32 v[20:21], v[20:21], s[14:15], v[24:25] op_sel:[0,0,1] op_sel_hi:[1,1,0] neg_lo:[0,0,1] neg_hi:[0,0,1]
	v_mov_b32_e32 v29, v27
	v_pk_add_f32 v[24:25], v[16:17], v[20:21] op_sel:[0,1] op_sel_hi:[1,0]
	v_pk_add_f32 v[8:9], v[8:9], v[12:13] neg_lo:[0,1] neg_hi:[0,1]
	v_pk_add_f32 v[2:3], v[2:3], v[4:5] op_sel:[0,1] op_sel_hi:[1,0] neg_lo:[0,1] neg_hi:[0,1]
	v_pk_add_f32 v[4:5], v[16:17], v[20:21] op_sel:[0,1] op_sel_hi:[1,0] neg_lo:[0,1] neg_hi:[0,1]
	v_pk_mul_f32 v[26:27], v[22:23], v[212:213] op_sel:[0,1]
	ds_write2_b64 v183, v[24:25], v[8:9] offset0:40 offset1:50
	v_pk_add_f32 v[8:9], v[160:161], v[178:179] neg_lo:[0,1] neg_hi:[0,1]
	v_pk_add_f32 v[12:13], v[34:35], v[146:147] neg_lo:[0,1] neg_hi:[0,1]
	ds_write2_b64 v183, v[2:3], v[4:5] offset0:80 offset1:90
	v_pk_add_f32 v[2:3], v[38:39], v[32:33]
	v_pk_add_f32 v[16:17], v[44:45], v[28:29] neg_lo:[0,1] neg_hi:[0,1]
	v_pk_fma_f32 v[140:141], v[22:23], v[212:213], v[26:27] op_sel:[0,0,1] op_sel_hi:[1,1,0] neg_lo:[0,0,1] neg_hi:[0,0,1]
	v_pk_fma_f32 v[22:23], v[22:23], v[212:213], v[26:27] op_sel:[0,0,1] op_sel_hi:[1,0,0]
	ds_write2_b64 v183, v[8:9], v[12:13] offset0:60 offset1:70
	v_pk_fma_f32 v[2:3], v[2:3], 0.5, v[6:7] op_sel_hi:[1,0,1] neg_lo:[1,0,0] neg_hi:[1,0,0]
	v_pk_mul_f32 v[8:9], v[16:17], s[4:5] op_sel_hi:[1,0]
	v_pk_add_f32 v[20:21], v[38:39], v[32:33] neg_lo:[0,1] neg_hi:[0,1]
	v_pk_add_f32 v[4:5], v[44:45], v[38:39] neg_lo:[0,1] neg_hi:[0,1]
	;; [unrolled: 1-line block ×3, first 2 shown]
	v_mov_b32_e32 v141, v23
	v_pk_mul_f32 v[12:13], v[20:21], s[8:9] op_sel_hi:[1,0]
	v_pk_add_f32 v[4:5], v[4:5], v[24:25]
	v_pk_add_f32 v[24:25], v[2:3], v[8:9] op_sel:[0,1] op_sel_hi:[1,0]
	v_pk_add_f32 v[2:3], v[2:3], v[8:9] op_sel:[0,1] op_sel_hi:[1,0] neg_lo:[0,1] neg_hi:[0,1]
	v_pk_add_f32 v[34:35], v[48:49], v[140:141] neg_lo:[0,1] neg_hi:[0,1]
	v_pk_add_f32 v[8:9], v[2:3], v[12:13] op_sel:[0,1] op_sel_hi:[1,0] neg_lo:[0,1] neg_hi:[0,1]
	v_pk_add_f32 v[12:13], v[24:25], v[12:13] op_sel:[0,1] op_sel_hi:[1,0]
	v_pk_add_f32 v[24:25], v[42:43], v[36:37]
	v_pk_mul_f32 v[40:41], v[34:35], s[4:5] op_sel_hi:[1,0]
	v_pk_fma_f32 v[24:25], v[24:25], 0.5, v[138:139] op_sel_hi:[1,0,1] neg_lo:[1,0,0] neg_hi:[1,0,0]
	v_pk_add_f32 v[46:47], v[42:43], v[36:37] neg_lo:[0,1] neg_hi:[0,1]
	v_pk_add_f32 v[146:147], v[48:49], v[42:43] neg_lo:[0,1] neg_hi:[0,1]
	;; [unrolled: 1-line block ×3, first 2 shown]
	v_pk_mul_f32 v[144:145], v[46:47], s[8:9] op_sel_hi:[1,0]
	v_pk_add_f32 v[146:147], v[146:147], v[150:151]
	v_pk_add_f32 v[150:151], v[24:25], v[40:41] op_sel:[0,1] op_sel_hi:[1,0]
	v_pk_add_f32 v[24:25], v[24:25], v[40:41] op_sel:[0,1] op_sel_hi:[1,0] neg_lo:[0,1] neg_hi:[0,1]
	v_pk_add_f32 v[40:41], v[150:151], v[144:145] op_sel:[0,1] op_sel_hi:[1,0]
	v_pk_add_f32 v[24:25], v[24:25], v[144:145] op_sel:[0,1] op_sel_hi:[1,0] neg_lo:[0,1] neg_hi:[0,1]
	v_mov_b32_e32 v144, v40
	v_mov_b32_e32 v145, v25
	v_pk_add_f32 v[22:23], v[6:7], v[44:45]
	v_pk_add_f32 v[26:27], v[138:139], v[48:49]
	v_pk_fma_f32 v[144:145], v[146:147], s[2:3], v[144:145] op_sel_hi:[1,0,1]
	v_pk_add_f32 v[22:23], v[22:23], v[38:39]
	v_pk_add_f32 v[26:27], v[26:27], v[42:43]
	v_pk_mul_f32 v[150:151], v[144:145], s[8:9] op_sel_hi:[1,0]
	v_pk_add_f32 v[22:23], v[22:23], v[32:33]
	v_pk_add_f32 v[26:27], v[26:27], v[36:37]
	v_mov_b32_e32 v2, v12
	v_mov_b32_e32 v3, v9
	v_pk_fma_f32 v[152:153], v[144:145], s[10:11], v[150:151] op_sel:[0,0,1] op_sel_hi:[1,0,0]
	v_pk_fma_f32 v[144:145], v[144:145], s[10:11], v[150:151] op_sel:[0,0,1] op_sel_hi:[1,0,0] neg_lo:[0,0,1] neg_hi:[0,0,1]
	v_pk_add_f32 v[22:23], v[22:23], v[28:29]
	v_pk_add_f32 v[26:27], v[26:27], v[140:141]
	v_pk_fma_f32 v[2:3], v[4:5], s[2:3], v[2:3] op_sel_hi:[1,0,1]
	v_mov_b32_e32 v153, v145
	v_pk_add_f32 v[142:143], v[22:23], v[26:27]
	v_pk_add_f32 v[144:145], v[2:3], v[152:153]
	ds_write2_b64 v182, v[142:143], v[144:145] offset1:10
	v_pk_add_f32 v[142:143], v[44:45], v[28:29]
	v_pk_add_f32 v[38:39], v[38:39], v[44:45] neg_lo:[0,1] neg_hi:[0,1]
	v_pk_add_f32 v[28:29], v[32:33], v[28:29] neg_lo:[0,1] neg_hi:[0,1]
	v_pk_fma_f32 v[6:7], v[142:143], 0.5, v[6:7] op_sel_hi:[1,0,1] neg_lo:[1,0,0] neg_hi:[1,0,0]
	v_pk_add_f32 v[28:29], v[38:39], v[28:29]
	v_pk_add_f32 v[38:39], v[42:43], v[48:49] neg_lo:[0,1] neg_hi:[0,1]
	v_pk_add_f32 v[36:37], v[36:37], v[140:141] neg_lo:[0,1] neg_hi:[0,1]
	v_pk_mul_f32 v[20:21], v[20:21], s[4:5] op_sel_hi:[1,0]
	v_pk_add_f32 v[32:33], v[48:49], v[140:141]
	v_pk_add_f32 v[36:37], v[38:39], v[36:37]
	v_pk_mul_f32 v[16:17], v[16:17], s[8:9] op_sel_hi:[1,0]
	v_pk_add_f32 v[38:39], v[6:7], v[20:21] op_sel:[0,1] op_sel_hi:[1,0] neg_lo:[0,1] neg_hi:[0,1]
	v_pk_add_f32 v[6:7], v[6:7], v[20:21] op_sel:[0,1] op_sel_hi:[1,0]
	v_pk_fma_f32 v[32:33], v[32:33], 0.5, v[138:139] op_sel_hi:[1,0,1] neg_lo:[1,0,0] neg_hi:[1,0,0]
	v_pk_add_f32 v[6:7], v[6:7], v[16:17] op_sel:[0,1] op_sel_hi:[1,0] neg_lo:[0,1] neg_hi:[0,1]
	v_pk_add_f32 v[16:17], v[38:39], v[16:17] op_sel:[0,1] op_sel_hi:[1,0]
	v_pk_mul_f32 v[38:39], v[46:47], s[4:5] op_sel_hi:[1,0]
	v_pk_mul_f32 v[34:35], v[34:35], s[8:9] op_sel_hi:[1,0]
	v_pk_add_f32 v[42:43], v[32:33], v[38:39] op_sel:[0,1] op_sel_hi:[1,0] neg_lo:[0,1] neg_hi:[0,1]
	v_pk_add_f32 v[32:33], v[32:33], v[38:39] op_sel:[0,1] op_sel_hi:[1,0]
	v_mov_b32_e32 v9, v13
	v_pk_add_f32 v[32:33], v[32:33], v[34:35] op_sel:[0,1] op_sel_hi:[1,0] neg_lo:[0,1] neg_hi:[0,1]
	v_pk_add_f32 v[34:35], v[42:43], v[34:35] op_sel:[0,1] op_sel_hi:[1,0]
	v_mov_b32_e32 v39, v33
	v_mov_b32_e32 v38, v34
	;; [unrolled: 1-line block ×3, first 2 shown]
	v_pk_fma_f32 v[38:39], v[36:37], s[2:3], v[38:39] op_sel_hi:[1,0,1]
	v_pk_fma_f32 v[4:5], v[4:5], s[2:3], v[8:9] op_sel_hi:[1,0,1]
	;; [unrolled: 1-line block ×3, first 2 shown]
	v_pk_mul_f32 v[42:43], v[38:39], s[4:5] op_sel_hi:[1,0]
	v_mov_b32_e32 v33, v35
	v_pk_mul_f32 v[12:13], v[8:9], s[10:11] op_sel_hi:[1,0]
	v_mov_b32_e32 v20, v16
	v_mov_b32_e32 v21, v7
	v_pk_fma_f32 v[44:45], v[38:39], s[2:3], v[42:43] op_sel:[0,0,1] op_sel_hi:[1,0,0]
	v_pk_fma_f32 v[38:39], v[38:39], s[2:3], v[42:43] op_sel:[0,0,1] op_sel_hi:[1,0,0] neg_lo:[0,0,1] neg_hi:[0,0,1]
	v_mov_b32_e32 v7, v17
	v_pk_fma_f32 v[16:17], v[36:37], s[2:3], v[32:33] op_sel_hi:[1,0,1]
	v_pk_fma_f32 v[8:9], v[8:9], s[14:15], v[12:13] op_sel:[0,0,1] op_sel_hi:[1,1,0] neg_lo:[0,0,1] neg_hi:[0,0,1]
	v_pk_fma_f32 v[20:21], v[28:29], s[2:3], v[20:21] op_sel_hi:[1,0,1]
	v_mov_b32_e32 v45, v39
	v_pk_fma_f32 v[6:7], v[28:29], s[2:3], v[6:7] op_sel_hi:[1,0,1]
	v_pk_mul_f32 v[28:29], v[16:17], s[2:3] op_sel_hi:[1,0]
	v_pk_add_f32 v[12:13], v[4:5], v[8:9] op_sel:[0,1] op_sel_hi:[1,0]
	v_pk_add_f32 v[22:23], v[22:23], v[26:27] neg_lo:[0,1] neg_hi:[0,1]
	v_pk_fma_f32 v[16:17], v[16:17], s[12:13], v[28:29] op_sel:[0,0,1] op_sel_hi:[1,1,0] neg_lo:[0,0,1] neg_hi:[0,0,1]
	ds_write2_b64 v182, v[12:13], v[22:23] offset0:40 offset1:50
	v_pk_add_f32 v[2:3], v[2:3], v[152:153] neg_lo:[0,1] neg_hi:[0,1]
	v_pk_add_f32 v[12:13], v[20:21], v[44:45] neg_lo:[0,1] neg_hi:[0,1]
	ds_write2_b64 v182, v[2:3], v[12:13] offset0:60 offset1:70
	v_pk_add_f32 v[2:3], v[6:7], v[16:17] op_sel:[0,1] op_sel_hi:[1,0] neg_lo:[0,1] neg_hi:[0,1]
	v_pk_add_f32 v[4:5], v[4:5], v[8:9] op_sel:[0,1] op_sel_hi:[1,0] neg_lo:[0,1] neg_hi:[0,1]
	v_pk_add_f32 v[28:29], v[6:7], v[16:17] op_sel:[0,1] op_sel_hi:[1,0]
	ds_write2_b64 v182, v[2:3], v[4:5] offset0:80 offset1:90
	v_pk_add_f32 v[4:5], v[0:1], v[52:53]
	v_pk_add_f32 v[6:7], v[50:51], v[18:19]
	;; [unrolled: 1-line block ×10, first 2 shown]
	v_pk_add_f32 v[8:9], v[4:5], v[6:7] op_sel:[0,1] op_sel_hi:[1,0] neg_lo:[0,1] neg_hi:[0,1]
	v_pk_add_f32 v[4:5], v[4:5], v[6:7] op_sel:[0,1] op_sel_hi:[1,0]
	v_pk_fma_f32 v[6:7], v[128:129], s[2:3], v[130:131] op_sel_hi:[1,0,1]
	ds_write2_b64 v182, v[38:39], v[28:29] offset0:20 offset1:30
	ds_write2_b64 v181, v[2:3], v[8:9] offset0:40 offset1:50
	v_pk_mul_f32 v[8:9], v[6:7], s[8:9] op_sel_hi:[1,0]
	v_pk_fma_f32 v[2:3], v[70:71], s[2:3], v[92:93] op_sel_hi:[1,0,1]
	v_pk_fma_f32 v[12:13], v[6:7], s[10:11], v[8:9] op_sel:[0,0,1] op_sel_hi:[1,0,0]
	v_pk_fma_f32 v[6:7], v[6:7], s[10:11], v[8:9] op_sel:[0,0,1] op_sel_hi:[1,0,0] neg_lo:[0,0,1] neg_hi:[0,0,1]
	v_mov_b32_e32 v8, v13
	v_mov_b32_e32 v9, v6
	v_pk_add_f32 v[6:7], v[2:3], v[8:9] neg_lo:[0,1] neg_hi:[0,1]
	v_pk_add_f32 v[2:3], v[2:3], v[8:9]
	ds_write2_b64 v181, v[4:5], v[2:3] offset1:10
	v_pk_add_f32 v[2:3], v[52:53], v[58:59]
	v_pk_add_f32 v[12:13], v[18:19], v[60:61]
	v_pk_fma_f32 v[0:1], v[2:3], 0.5, v[0:1] op_sel_hi:[1,0,1] neg_lo:[1,0,0] neg_hi:[1,0,0]
	v_pk_add_f32 v[2:3], v[54:55], v[52:53] neg_lo:[0,1] neg_hi:[0,1]
	v_pk_add_f32 v[4:5], v[56:57], v[58:59] neg_lo:[0,1] neg_hi:[0,1]
	v_pk_fma_f32 v[12:13], v[12:13], 0.5, v[50:51] op_sel_hi:[1,0,1] neg_lo:[1,0,0] neg_hi:[1,0,0]
	v_pk_add_f32 v[14:15], v[14:15], v[18:19] neg_lo:[0,1] neg_hi:[0,1]
	v_pk_add_f32 v[10:11], v[10:11], v[60:61] neg_lo:[0,1] neg_hi:[0,1]
	v_pk_add_f32 v[2:3], v[2:3], v[4:5]
	v_pk_fma_f32 v[4:5], v[68:69], s[4:5], v[0:1] op_sel:[1,0,0] op_sel_hi:[0,0,1]
	v_pk_fma_f32 v[0:1], v[68:69], s[4:5], v[0:1] op_sel:[1,0,0] op_sel_hi:[0,0,1] neg_lo:[1,0,0] neg_hi:[1,0,0]
	v_pk_add_f32 v[10:11], v[14:15], v[10:11]
	v_pk_fma_f32 v[14:15], v[66:67], s[4:5], v[12:13] op_sel:[1,0,0] op_sel_hi:[0,0,1] neg_lo:[1,0,0] neg_hi:[1,0,0]
	v_pk_fma_f32 v[12:13], v[66:67], s[4:5], v[12:13] op_sel:[1,0,0] op_sel_hi:[0,0,1]
	v_pk_fma_f32 v[0:1], v[64:65], s[8:9], v[0:1] op_sel:[1,0,0] op_sel_hi:[0,0,1]
	v_pk_fma_f32 v[4:5], v[64:65], s[8:9], v[4:5] op_sel:[1,0,0] op_sel_hi:[0,0,1] neg_lo:[1,0,0] neg_hi:[1,0,0]
	v_pk_fma_f32 v[12:13], v[62:63], s[8:9], v[12:13] op_sel:[1,0,0] op_sel_hi:[0,0,1] neg_lo:[1,0,0] neg_hi:[1,0,0]
	v_pk_fma_f32 v[14:15], v[62:63], s[8:9], v[14:15] op_sel:[1,0,0] op_sel_hi:[0,0,1]
	v_mov_b32_e32 v8, v4
	v_mov_b32_e32 v9, v1
	;; [unrolled: 1-line block ×5, first 2 shown]
	v_pk_fma_f32 v[8:9], v[2:3], s[2:3], v[8:9] op_sel_hi:[1,0,1]
	v_mov_b32_e32 v16, v14
	s_mov_b32 s5, s12
	v_pk_fma_f32 v[0:1], v[2:3], s[2:3], v[0:1] op_sel_hi:[1,0,1]
	v_pk_fma_f32 v[2:3], v[10:11], s[2:3], v[12:13] op_sel_hi:[1,0,1]
	v_pk_fma_f32 v[16:17], v[10:11], s[2:3], v[16:17] op_sel_hi:[1,0,1]
	v_pk_mul_f32 v[4:5], v[2:3], s[4:5] op_sel_hi:[1,0]
	v_pk_mul_f32 v[18:19], v[16:17], s[2:3] op_sel_hi:[1,0]
	v_pk_fma_f32 v[10:11], v[2:3], s[2:3], v[4:5] op_sel:[0,0,1] op_sel_hi:[1,0,0]
	v_pk_fma_f32 v[2:3], v[2:3], s[2:3], v[4:5] op_sel:[0,0,1] op_sel_hi:[1,0,0] neg_lo:[0,0,1] neg_hi:[0,0,1]
	v_pk_fma_f32 v[16:17], v[16:17], s[4:5], v[18:19] op_sel:[0,0,1] op_sel_hi:[1,1,0] neg_lo:[0,0,1] neg_hi:[0,0,1]
	v_mov_b32_e32 v4, v11
	v_mov_b32_e32 v5, v2
	v_pk_add_f32 v[18:19], v[8:9], v[16:17] neg_lo:[0,1] neg_hi:[0,1]
	v_pk_add_f32 v[8:9], v[8:9], v[16:17]
	v_pk_add_f32 v[2:3], v[0:1], v[4:5] neg_lo:[0,1] neg_hi:[0,1]
	v_pk_add_f32 v[0:1], v[0:1], v[4:5]
	v_pk_add_f32 v[30:31], v[134:135], v[136:137] neg_lo:[0,1] neg_hi:[0,1]
	ds_write2_b64 v181, v[0:1], v[8:9] offset0:20 offset1:30
	ds_write2_b64 v181, v[6:7], v[2:3] offset0:60 offset1:70
	;; [unrolled: 1-line block ×3, first 2 shown]
	v_add_u32_e32 v0, 0xffffff9c, v228
	v_cndmask_b32_e32 v2, v0, v228, vcc
	v_mul_hi_i32_i24_e32 v1, 40, v2
	v_mul_i32_i24_e32 v0, 40, v2
	v_lshl_add_u64 v[0:1], s[6:7], 0, v[0:1]
	s_waitcnt lgkmcnt(0)
	s_barrier
	global_load_dwordx2 v[182:183], v[0:1], off offset:752
	global_load_dwordx4 v[236:239], v[0:1], off offset:736
	global_load_dwordx4 v[240:243], v[0:1], off offset:720
	v_mov_b32_e32 v0, 41
	v_mul_lo_u16_sdwa v0, v88, v0 dst_sel:DWORD dst_unused:UNUSED_PAD src0_sel:BYTE_0 src1_sel:DWORD
	v_lshrrev_b16_e32 v3, 12, v0
	v_mul_lo_u16_e32 v0, 0x64, v3
	v_sub_u16_e32 v0, v88, v0
	v_and_b32_e32 v4, 0xff, v0
	v_mad_u64_u32 v[0:1], s[12:13], v4, 40, s[6:7]
	global_load_dwordx2 v[184:185], v[0:1], off offset:752
	global_load_dwordx4 v[232:235], v[0:1], off offset:736
	global_load_dwordx4 v[12:15], v[0:1], off offset:720
	v_lshrrev_b16_e32 v0, 2, v90
	v_mul_u32_u24_e32 v0, 0x147b, v0
	v_lshrrev_b32_e32 v5, 17, v0
	v_mul_lo_u16_e32 v0, 0x64, v5
	v_sub_u16_e32 v6, v90, v0
	v_mul_lo_u16_e32 v0, 40, v6
	v_mov_b32_e32 v1, v247
	v_lshl_add_u64 v[0:1], s[6:7], 0, v[0:1]
	global_load_dwordx2 v[92:93], v[0:1], off offset:752
	global_load_dwordx4 v[16:19], v[0:1], off offset:736
	global_load_dwordx4 v[20:23], v[0:1], off offset:720
	v_add_u16_e32 v0, 0x168, v228
	v_lshrrev_b16_e32 v1, 2, v0
	v_mul_u32_u24_e32 v1, 0x147b, v1
	v_lshrrev_b32_e32 v7, 17, v1
	v_mul_lo_u16_e32 v1, 0x64, v7
	v_sub_u16_e32 v8, v0, v1
	v_mul_lo_u16_e32 v0, 40, v8
	v_mov_b32_e32 v1, v247
	v_lshl_add_u64 v[0:1], s[6:7], 0, v[0:1]
	global_load_dwordx2 v[10:11], v[0:1], off offset:752
	global_load_dwordx4 v[24:27], v[0:1], off offset:736
	global_load_dwordx4 v[28:31], v[0:1], off offset:720
	v_add_u16_e32 v0, 0x1e0, v228
	v_lshrrev_b16_e32 v1, 2, v0
	v_mul_u32_u24_e32 v1, 0x147b, v1
	v_lshrrev_b32_e32 v9, 17, v1
	v_mul_lo_u16_e32 v1, 0x64, v9
	v_sub_u16_e32 v32, v0, v1
	v_mul_lo_u16_e32 v0, 40, v32
	v_mov_b32_e32 v1, v247
	v_lshl_add_u64 v[0:1], s[6:7], 0, v[0:1]
	global_load_dwordx2 v[220:221], v[0:1], off offset:752
	global_load_dwordx4 v[48:51], v[0:1], off offset:736
	global_load_dwordx4 v[52:55], v[0:1], off offset:720
	s_movk_i32 s5, 0x63
	v_cmp_lt_u16_e32 vcc, s5, v228
	v_mov_b32_e32 v0, 0x258
	s_movk_i32 s5, 0x258
	v_cndmask_b32_e32 v0, 0, v0, vcc
	v_add_lshl_u32 v111, v2, v0, 3
	v_mul_u32_u24_e32 v0, 0x258, v3
	v_add_lshl_u32 v107, v0, v4, 3
	v_mad_legacy_u16 v0, v5, s5, v6
	v_lshlrev_b32_e32 v103, 3, v0
	v_mad_legacy_u16 v0, v7, s5, v8
	v_lshlrev_b32_e32 v99, 3, v0
	v_mad_legacy_u16 v0, v9, s5, v32
	v_lshlrev_b32_e32 v75, 3, v0
	ds_read2_b64 v[32:35], v227 offset0:96 offset1:216
	ds_read2_b64 v[0:3], v255 offset0:64 offset1:184
	ds_read2_b64 v[42:45], v251 offset0:16 offset1:136
	ds_read2_b64 v[64:67], v188 offset0:112 offset1:232
	ds_read2_b64 v[38:41], v252 offset0:64 offset1:184
	ds_read2_b64 v[60:63], v189 offset0:32 offset1:152
	s_mov_b32 s12, 0x3f5db3d7
	v_accvgpr_write_b32 a77, v111
	v_accvgpr_write_b32 a70, v107
	;; [unrolled: 1-line block ×5, first 2 shown]
	s_mov_b32 s14, 0.5
	s_mov_b32 s15, s12
	s_waitcnt vmcnt(14)
	v_accvgpr_write_b32 a92, v182
	v_accvgpr_write_b32 a93, v183
	s_waitcnt vmcnt(12)
	v_accvgpr_write_b32 a100, v243
	v_accvgpr_write_b32 a112, v239
	;; [unrolled: 3-line block ×5, first 2 shown]
	s_waitcnt vmcnt(7)
	v_accvgpr_write_b32 a104, v19
	s_waitcnt vmcnt(6)
	v_accvgpr_write_b32 a96, v23
	;; [unrolled: 2-line block ×5, first 2 shown]
	s_waitcnt vmcnt(0) lgkmcnt(4)
	v_pk_mul_f32 v[4:5], v[2:3], v[52:53] op_sel_hi:[1,0]
	v_mov_b32_e32 v6, v53
	v_pk_fma_f32 v[46:47], v[2:3], v[6:7], v[4:5] op_sel:[0,0,1] op_sel_hi:[1,1,0]
	v_pk_fma_f32 v[2:3], v[2:3], v[52:53], v[4:5] op_sel:[0,1,1] op_sel_hi:[1,1,0] neg_lo:[1,0,0] neg_hi:[1,0,0]
	v_mov_b32_e32 v4, v55
	v_mov_b32_e32 v47, v3
	s_waitcnt lgkmcnt(3)
	v_pk_mul_f32 v[2:3], v[42:43], v[4:5] op_sel_hi:[1,0]
	v_mov_b32_e32 v4, v49
	v_pk_fma_f32 v[132:133], v[42:43], v[54:55], v[2:3] op_sel:[0,0,1] op_sel_hi:[1,1,0] neg_lo:[0,0,1] neg_hi:[0,0,1]
	v_pk_fma_f32 v[2:3], v[42:43], v[54:55], v[2:3] op_sel:[0,0,1] op_sel_hi:[1,0,0]
	v_accvgpr_write_b32 a86, v55
	v_mov_b32_e32 v133, v3
	s_waitcnt lgkmcnt(2)
	v_pk_mul_f32 v[2:3], v[66:67], v[48:49] op_sel_hi:[1,0]
	v_mov_b32_e32 v55, v89
	v_pk_fma_f32 v[128:129], v[66:67], v[4:5], v[2:3] op_sel:[0,0,1] op_sel_hi:[1,1,0]
	v_pk_fma_f32 v[2:3], v[66:67], v[48:49], v[2:3] op_sel:[0,1,1] op_sel_hi:[1,1,0] neg_lo:[1,0,0] neg_hi:[1,0,0]
	v_mov_b32_e32 v4, v51
	v_mov_b32_e32 v129, v3
	s_waitcnt lgkmcnt(1)
	v_pk_mul_f32 v[2:3], v[38:39], v[4:5] op_sel_hi:[1,0]
	v_mov_b32_e32 v4, v221
	v_pk_fma_f32 v[130:131], v[38:39], v[50:51], v[2:3] op_sel:[0,0,1] op_sel_hi:[1,1,0] neg_lo:[0,0,1] neg_hi:[0,0,1]
	v_pk_fma_f32 v[2:3], v[38:39], v[50:51], v[2:3] op_sel:[0,0,1] op_sel_hi:[1,0,0]
	v_mov_b32_e32 v51, v189
	v_mov_b32_e32 v131, v3
	s_waitcnt lgkmcnt(0)
	v_pk_mul_f32 v[2:3], v[62:63], v[220:221] op_sel_hi:[1,0]
	s_nop 0
	v_pk_fma_f32 v[136:137], v[62:63], v[4:5], v[2:3] op_sel:[0,0,1] op_sel_hi:[1,1,0]
	v_pk_fma_f32 v[2:3], v[62:63], v[220:221], v[2:3] op_sel:[0,1,1] op_sel_hi:[1,1,0] neg_lo:[1,0,0] neg_hi:[1,0,0]
	v_pk_add_f32 v[4:5], v[132:133], v[130:131] neg_lo:[0,1] neg_hi:[0,1]
	v_mov_b32_e32 v137, v3
	v_pk_add_f32 v[2:3], v[132:133], v[130:131]
	v_pk_mul_f32 v[4:5], v[4:5], s[12:13] op_sel_hi:[1,0]
	v_pk_fma_f32 v[2:3], v[2:3], 0.5, v[32:33] op_sel_hi:[1,0,1] neg_lo:[1,0,0] neg_hi:[1,0,0]
	v_pk_add_f32 v[8:9], v[128:129], v[136:137] neg_lo:[0,1] neg_hi:[0,1]
	v_pk_add_f32 v[6:7], v[4:5], v[2:3] op_sel:[1,0] op_sel_hi:[0,1]
	v_pk_add_f32 v[2:3], v[2:3], v[4:5] op_sel:[0,1] op_sel_hi:[1,0] neg_lo:[0,1] neg_hi:[0,1]
	v_pk_add_f32 v[4:5], v[128:129], v[136:137]
	v_pk_mul_f32 v[8:9], v[8:9], s[12:13] op_sel_hi:[1,0]
	v_pk_fma_f32 v[4:5], v[4:5], 0.5, v[46:47] op_sel_hi:[1,0,1] neg_lo:[1,0,0] neg_hi:[1,0,0]
	v_mov_b32_e32 v138, v2
	v_pk_add_f32 v[36:37], v[8:9], v[4:5] op_sel:[1,0] op_sel_hi:[0,1]
	v_pk_add_f32 v[4:5], v[4:5], v[8:9] op_sel:[0,1] op_sel_hi:[1,0] neg_lo:[0,1] neg_hi:[0,1]
	v_mov_b32_e32 v8, v36
	v_mov_b32_e32 v9, v5
	v_mul_f32_e32 v2, 0x3f5db3d7, v4
	s_mov_b32 s13, 0xbf5db3d7
	v_pk_mul_f32 v[38:39], v[8:9], 0.5 op_sel_hi:[1,0]
	v_fmac_f32_e32 v2, 0.5, v37
	v_pk_fma_f32 v[140:141], v[8:9], s[12:13], v[38:39] op_sel:[0,0,1] op_sel_hi:[1,1,0] neg_lo:[0,0,1] neg_hi:[0,0,1]
	v_mul_f32_e32 v5, 0xbf5db3d7, v37
	ds_read2_b64 v[36:39], v226 offset0:112 offset1:232
	ds_read2_b64 v[68:71], v250 offset0:32 offset1:152
	v_fmac_f32_e32 v5, 0.5, v4
	v_add_f32_e32 v134, v6, v2
	v_add_f32_e32 v135, v3, v5
	v_sub_f32_e32 v42, v6, v2
	v_sub_f32_e32 v43, v3, v5
	v_pk_mul_f32 v[2:3], v[0:1], v[28:29] op_sel_hi:[1,0]
	v_mov_b32_e32 v4, v29
	ds_read2_b64 v[56:59], v89 offset0:80 offset1:200
	v_pk_fma_f32 v[142:143], v[0:1], v[4:5], v[2:3] op_sel:[0,0,1] op_sel_hi:[1,1,0]
	v_pk_fma_f32 v[0:1], v[0:1], v[28:29], v[2:3] op_sel:[0,1,1] op_sel_hi:[1,1,0] neg_lo:[1,0,0] neg_hi:[1,0,0]
	v_mov_b32_e32 v2, v31
	v_mov_b32_e32 v143, v1
	s_waitcnt lgkmcnt(1)
	v_pk_mul_f32 v[0:1], v[70:71], v[2:3] op_sel_hi:[1,0]
	v_mov_b32_e32 v2, v25
	v_pk_fma_f32 v[148:149], v[70:71], v[30:31], v[0:1] op_sel:[0,0,1] op_sel_hi:[1,1,0] neg_lo:[0,0,1] neg_hi:[0,0,1]
	v_pk_fma_f32 v[0:1], v[70:71], v[30:31], v[0:1] op_sel:[0,0,1] op_sel_hi:[1,0,0]
	v_mov_b32_e32 v139, v7
	v_mov_b32_e32 v149, v1
	v_pk_mul_f32 v[0:1], v[64:65], v[24:25] op_sel_hi:[1,0]
	v_pk_add_f32 v[178:179], v[138:139], v[140:141] neg_lo:[0,1] neg_hi:[0,1]
	v_pk_fma_f32 v[146:147], v[64:65], v[2:3], v[0:1] op_sel:[0,0,1] op_sel_hi:[1,1,0]
	v_pk_fma_f32 v[0:1], v[64:65], v[24:25], v[0:1] op_sel:[0,1,1] op_sel_hi:[1,1,0] neg_lo:[1,0,0] neg_hi:[1,0,0]
	v_mov_b32_e32 v2, v27
	v_mov_b32_e32 v147, v1
	s_waitcnt lgkmcnt(0)
	v_pk_mul_f32 v[0:1], v[58:59], v[2:3] op_sel_hi:[1,0]
	v_mov_b32_e32 v2, v11
	v_pk_fma_f32 v[150:151], v[58:59], v[26:27], v[0:1] op_sel:[0,0,1] op_sel_hi:[1,1,0] neg_lo:[0,0,1] neg_hi:[0,0,1]
	v_pk_fma_f32 v[0:1], v[58:59], v[26:27], v[0:1] op_sel:[0,0,1] op_sel_hi:[1,0,0]
	s_nop 0
	v_mov_b32_e32 v151, v1
	v_pk_mul_f32 v[0:1], v[60:61], v[10:11] op_sel_hi:[1,0]
	s_nop 0
	v_pk_fma_f32 v[154:155], v[60:61], v[2:3], v[0:1] op_sel:[0,0,1] op_sel_hi:[1,1,0]
	v_pk_fma_f32 v[0:1], v[60:61], v[10:11], v[0:1] op_sel:[0,1,1] op_sel_hi:[1,1,0] neg_lo:[1,0,0] neg_hi:[1,0,0]
	v_pk_add_f32 v[2:3], v[148:149], v[150:151] neg_lo:[0,1] neg_hi:[0,1]
	v_mov_b32_e32 v155, v1
	v_pk_add_f32 v[0:1], v[148:149], v[150:151]
	v_pk_mul_f32 v[2:3], v[2:3], s[12:13] op_sel_hi:[1,0]
	v_pk_fma_f32 v[0:1], v[0:1], 0.5, v[38:39] op_sel_hi:[1,0,1] neg_lo:[1,0,0] neg_hi:[1,0,0]
	v_pk_add_f32 v[6:7], v[146:147], v[154:155] neg_lo:[0,1] neg_hi:[0,1]
	v_pk_add_f32 v[4:5], v[2:3], v[0:1] op_sel:[1,0] op_sel_hi:[0,1]
	v_pk_add_f32 v[0:1], v[0:1], v[2:3] op_sel:[0,1] op_sel_hi:[1,0] neg_lo:[0,1] neg_hi:[0,1]
	v_pk_add_f32 v[2:3], v[146:147], v[154:155]
	v_pk_mul_f32 v[6:7], v[6:7], s[12:13] op_sel_hi:[1,0]
	v_pk_fma_f32 v[2:3], v[2:3], 0.5, v[142:143] op_sel_hi:[1,0,1] neg_lo:[1,0,0] neg_hi:[1,0,0]
	ds_read2_b64 v[88:91], v254 offset0:80 offset1:200
	ds_read2_b64 v[64:67], v249 offset0:128 offset1:248
	;; [unrolled: 1-line block ×3, first 2 shown]
	v_pk_add_f32 v[8:9], v[6:7], v[2:3] op_sel:[1,0] op_sel_hi:[0,1]
	v_pk_add_f32 v[2:3], v[2:3], v[6:7] op_sel:[0,1] op_sel_hi:[1,0] neg_lo:[0,1] neg_hi:[0,1]
	v_mov_b32_e32 v156, v0
	v_mov_b32_e32 v7, v3
	v_mul_f32_e32 v0, 0x3f5db3d7, v2
	v_mul_f32_e32 v3, 0xbf5db3d7, v9
	v_fmac_f32_e32 v0, 0.5, v9
	v_fmac_f32_e32 v3, 0.5, v2
	v_add_f32_e32 v152, v4, v0
	v_add_f32_e32 v153, v1, v3
	v_sub_f32_e32 v70, v4, v0
	v_sub_f32_e32 v71, v1, v3
	s_waitcnt lgkmcnt(2)
	v_pk_mul_f32 v[0:1], v[90:91], v[20:21] op_sel_hi:[1,0]
	v_mov_b32_e32 v2, v21
	v_pk_fma_f32 v[160:161], v[90:91], v[2:3], v[0:1] op_sel:[0,0,1] op_sel_hi:[1,1,0]
	v_pk_fma_f32 v[0:1], v[90:91], v[20:21], v[0:1] op_sel:[0,1,1] op_sel_hi:[1,1,0] neg_lo:[1,0,0] neg_hi:[1,0,0]
	v_mov_b32_e32 v2, v23
	v_mov_b32_e32 v161, v1
	v_pk_mul_f32 v[0:1], v[68:69], v[2:3] op_sel_hi:[1,0]
	v_mov_b32_e32 v2, v17
	v_pk_fma_f32 v[162:163], v[68:69], v[22:23], v[0:1] op_sel:[0,0,1] op_sel_hi:[1,1,0] neg_lo:[0,0,1] neg_hi:[0,0,1]
	v_pk_fma_f32 v[0:1], v[68:69], v[22:23], v[0:1] op_sel:[0,0,1] op_sel_hi:[1,0,0]
	v_mov_b32_e32 v6, v8
	v_mov_b32_e32 v163, v1
	s_waitcnt lgkmcnt(1)
	v_pk_mul_f32 v[0:1], v[66:67], v[16:17] op_sel_hi:[1,0]
	v_pk_mul_f32 v[58:59], v[6:7], 0.5 op_sel_hi:[1,0]
	v_pk_fma_f32 v[164:165], v[66:67], v[2:3], v[0:1] op_sel:[0,0,1] op_sel_hi:[1,1,0]
	v_pk_fma_f32 v[0:1], v[66:67], v[16:17], v[0:1] op_sel:[0,1,1] op_sel_hi:[1,1,0] neg_lo:[1,0,0] neg_hi:[1,0,0]
	v_mov_b32_e32 v2, v19
	v_mov_b32_e32 v165, v1
	v_pk_mul_f32 v[0:1], v[56:57], v[2:3] op_sel_hi:[1,0]
	v_mov_b32_e32 v2, v93
	v_pk_fma_f32 v[170:171], v[56:57], v[18:19], v[0:1] op_sel:[0,0,1] op_sel_hi:[1,1,0] neg_lo:[0,0,1] neg_hi:[0,0,1]
	v_pk_fma_f32 v[0:1], v[56:57], v[18:19], v[0:1] op_sel:[0,0,1] op_sel_hi:[1,0,0]
	v_mov_b32_e32 v157, v5
	v_mov_b32_e32 v171, v1
	s_waitcnt lgkmcnt(0)
	v_pk_mul_f32 v[0:1], v[62:63], v[92:93] op_sel_hi:[1,0]
	v_pk_fma_f32 v[158:159], v[6:7], s[12:13], v[58:59] op_sel:[0,0,1] op_sel_hi:[1,1,0] neg_lo:[0,0,1] neg_hi:[0,0,1]
	v_pk_fma_f32 v[172:173], v[62:63], v[2:3], v[0:1] op_sel:[0,0,1] op_sel_hi:[1,1,0]
	v_pk_fma_f32 v[0:1], v[62:63], v[92:93], v[0:1] op_sel:[0,1,1] op_sel_hi:[1,1,0] neg_lo:[1,0,0] neg_hi:[1,0,0]
	v_pk_add_f32 v[2:3], v[162:163], v[170:171] neg_lo:[0,1] neg_hi:[0,1]
	v_mov_b32_e32 v173, v1
	v_pk_add_f32 v[0:1], v[162:163], v[170:171]
	v_pk_mul_f32 v[2:3], v[2:3], s[12:13] op_sel_hi:[1,0]
	v_pk_fma_f32 v[0:1], v[0:1], 0.5, v[36:37] op_sel_hi:[1,0,1] neg_lo:[1,0,0] neg_hi:[1,0,0]
	v_pk_add_f32 v[6:7], v[164:165], v[172:173] neg_lo:[0,1] neg_hi:[0,1]
	v_pk_add_f32 v[4:5], v[2:3], v[0:1] op_sel:[1,0] op_sel_hi:[0,1]
	v_pk_add_f32 v[0:1], v[0:1], v[2:3] op_sel:[0,1] op_sel_hi:[1,0] neg_lo:[0,1] neg_hi:[0,1]
	v_pk_add_f32 v[2:3], v[164:165], v[172:173]
	v_pk_mul_f32 v[6:7], v[6:7], s[12:13] op_sel_hi:[1,0]
	v_pk_fma_f32 v[2:3], v[2:3], 0.5, v[160:161] op_sel_hi:[1,0,1] neg_lo:[1,0,0] neg_hi:[1,0,0]
	v_mov_b32_e32 v174, v0
	v_pk_add_f32 v[8:9], v[6:7], v[2:3] op_sel:[1,0] op_sel_hi:[0,1]
	v_pk_add_f32 v[2:3], v[2:3], v[6:7] op_sel:[0,1] op_sel_hi:[1,0] neg_lo:[0,1] neg_hi:[0,1]
	v_mov_b32_e32 v6, v8
	v_mov_b32_e32 v7, v3
	v_pk_mul_f32 v[56:57], v[6:7], 0.5 op_sel_hi:[1,0]
	v_mul_f32_e32 v3, 0xbf5db3d7, v9
	v_pk_fma_f32 v[176:177], v[6:7], s[12:13], v[56:57] op_sel:[0,0,1] op_sel_hi:[1,1,0] neg_lo:[0,0,1] neg_hi:[0,0,1]
	ds_read2_b64 v[56:59], v246 offset1:120
	ds_read2_b64 v[90:93], v248 offset0:48 offset1:168
	v_mul_f32_e32 v0, 0x3f5db3d7, v2
	v_fmac_f32_e32 v3, 0.5, v2
	v_fmac_f32_e32 v0, 0.5, v9
	v_add_f32_e32 v169, v1, v3
	v_sub_f32_e32 v63, v1, v3
	v_pk_mul_f32 v[2:3], v[88:89], v[12:13] op_sel:[0,1]
	v_add_f32_e32 v168, v4, v0
	v_sub_f32_e32 v62, v4, v0
	v_pk_fma_f32 v[0:1], v[88:89], v[12:13], v[2:3] op_sel:[0,0,1] op_sel_hi:[1,1,0] neg_lo:[0,0,1] neg_hi:[0,0,1]
	v_pk_fma_f32 v[2:3], v[88:89], v[12:13], v[2:3] op_sel:[0,0,1] op_sel_hi:[1,0,0]
	ds_read2_b64 v[66:69], v180 offset0:96 offset1:216
	v_mov_b32_e32 v2, v15
	v_mov_b32_e32 v175, v5
	s_waitcnt lgkmcnt(1)
	v_pk_mul_f32 v[4:5], v[92:93], v[2:3] op_sel_hi:[1,0]
	v_mov_b32_e32 v1, v3
	v_pk_fma_f32 v[2:3], v[92:93], v[14:15], v[4:5] op_sel:[0,0,1] op_sel_hi:[1,1,0] neg_lo:[0,0,1] neg_hi:[0,0,1]
	v_pk_fma_f32 v[4:5], v[92:93], v[14:15], v[4:5] op_sel:[0,0,1] op_sel_hi:[1,0,0]
	v_mov_b32_e32 v6, v235
	v_mov_b32_e32 v3, v5
	v_pk_mul_f32 v[4:5], v[64:65], v[232:233] op_sel:[0,1]
	v_pk_mul_f32 v[92:93], v[34:35], v[240:241] op_sel:[0,1]
	v_pk_fma_f32 v[88:89], v[64:65], v[232:233], v[4:5] op_sel:[0,0,1] op_sel_hi:[1,1,0] neg_lo:[0,0,1] neg_hi:[0,0,1]
	v_pk_fma_f32 v[4:5], v[64:65], v[232:233], v[4:5] op_sel:[0,0,1] op_sel_hi:[1,0,0]
	v_mov_b32_e32 v23, v180
	v_mov_b32_e32 v89, v5
	s_waitcnt lgkmcnt(0)
	v_pk_mul_f32 v[4:5], v[68:69], v[6:7] op_sel_hi:[1,0]
	s_nop 0
	v_pk_fma_f32 v[6:7], v[68:69], v[234:235], v[4:5] op_sel:[0,0,1] op_sel_hi:[1,1,0] neg_lo:[0,0,1] neg_hi:[0,0,1]
	v_pk_fma_f32 v[4:5], v[68:69], v[234:235], v[4:5] op_sel:[0,0,1] op_sel_hi:[1,0,0]
	v_pk_fma_f32 v[68:69], v[34:35], v[240:241], v[92:93] op_sel:[0,0,1] op_sel_hi:[1,1,0] neg_lo:[0,0,1] neg_hi:[0,0,1]
	v_pk_fma_f32 v[34:35], v[34:35], v[240:241], v[92:93] op_sel:[0,0,1] op_sel_hi:[1,0,0]
	v_mov_b32_e32 v92, v243
	v_mov_b32_e32 v69, v35
	v_pk_mul_f32 v[34:35], v[90:91], v[92:93] op_sel_hi:[1,0]
	v_mov_b32_e32 v7, v5
	v_pk_fma_f32 v[92:93], v[90:91], v[242:243], v[34:35] op_sel:[0,0,1] op_sel_hi:[1,1,0] neg_lo:[0,0,1] neg_hi:[0,0,1]
	v_pk_fma_f32 v[34:35], v[90:91], v[242:243], v[34:35] op_sel:[0,0,1] op_sel_hi:[1,0,0]
	v_pk_mul_f32 v[4:5], v[60:61], v[184:185] op_sel:[0,1]
	v_mov_b32_e32 v93, v35
	v_pk_mul_f32 v[34:35], v[44:45], v[236:237] op_sel:[0,1]
	v_pk_fma_f32 v[8:9], v[60:61], v[184:185], v[4:5] op_sel:[0,0,1] op_sel_hi:[1,1,0] neg_lo:[0,0,1] neg_hi:[0,0,1]
	v_pk_fma_f32 v[90:91], v[44:45], v[236:237], v[34:35] op_sel:[0,0,1] op_sel_hi:[1,1,0] neg_lo:[0,0,1] neg_hi:[0,0,1]
	v_pk_fma_f32 v[34:35], v[44:45], v[236:237], v[34:35] op_sel:[0,0,1] op_sel_hi:[1,0,0]
	v_mov_b32_e32 v44, v239
	v_mov_b32_e32 v91, v35
	v_pk_mul_f32 v[34:35], v[66:67], v[44:45] op_sel_hi:[1,0]
	v_pk_fma_f32 v[4:5], v[60:61], v[184:185], v[4:5] op_sel:[0,0,1] op_sel_hi:[1,0,0]
	v_pk_fma_f32 v[44:45], v[66:67], v[238:239], v[34:35] op_sel:[0,0,1] op_sel_hi:[1,1,0] neg_lo:[0,0,1] neg_hi:[0,0,1]
	v_pk_fma_f32 v[34:35], v[66:67], v[238:239], v[34:35] op_sel:[0,0,1] op_sel_hi:[1,0,0]
	v_mov_b32_e32 v9, v5
	v_mov_b32_e32 v45, v35
	v_pk_mul_f32 v[34:35], v[40:41], v[182:183] op_sel:[0,1]
	v_pk_add_f32 v[4:5], v[58:59], v[2:3]
	v_pk_fma_f32 v[66:67], v[40:41], v[182:183], v[34:35] op_sel:[0,0,1] op_sel_hi:[1,1,0] neg_lo:[0,0,1] neg_hi:[0,0,1]
	v_pk_fma_f32 v[34:35], v[40:41], v[182:183], v[34:35] op_sel:[0,0,1] op_sel_hi:[1,0,0]
	v_pk_add_f32 v[182:183], v[92:93], v[44:45]
	v_mov_b32_e32 v67, v35
	v_pk_add_f32 v[34:35], v[56:57], v[92:93]
	v_pk_add_f32 v[40:41], v[68:69], v[90:91]
	v_pk_fma_f32 v[56:57], v[182:183], 0.5, v[56:57] op_sel_hi:[1,0,1] neg_lo:[1,0,0] neg_hi:[1,0,0]
	v_pk_add_f32 v[182:183], v[90:91], v[66:67]
	v_pk_add_f32 v[40:41], v[40:41], v[66:67]
	v_pk_fma_f32 v[68:69], v[182:183], 0.5, v[68:69] op_sel_hi:[1,0,1] neg_lo:[1,0,0] neg_hi:[1,0,0]
	v_pk_add_f32 v[66:67], v[90:91], v[66:67] neg_lo:[0,1] neg_hi:[0,1]
	v_pk_add_f32 v[34:35], v[34:35], v[44:45]
	v_pk_add_f32 v[44:45], v[92:93], v[44:45] neg_lo:[0,1] neg_hi:[0,1]
	v_pk_fma_f32 v[90:91], v[66:67], s[12:13], v[68:69] op_sel:[0,0,1] op_sel_hi:[1,0,0]
	v_pk_fma_f32 v[66:67], v[66:67], s[12:13], v[68:69] op_sel:[0,0,1] op_sel_hi:[1,0,0] neg_lo:[1,0,0] neg_hi:[1,0,0]
	v_pk_mul_f32 v[44:45], v[44:45], s[12:13] op_sel_hi:[1,0]
	v_mov_b32_e32 v68, v90
	v_mov_b32_e32 v69, v67
	v_mul_f32_e32 v19, 0xbf5db3d7, v91
	v_pk_add_f32 v[92:93], v[44:45], v[56:57] op_sel:[1,0] op_sel_hi:[0,1]
	v_pk_add_f32 v[44:45], v[56:57], v[44:45] op_sel:[0,1] op_sel_hi:[1,0] neg_lo:[0,1] neg_hi:[0,1]
	v_mul_f32_e32 v15, 0x3f5db3d7, v66
	v_fmac_f32_e32 v19, 0.5, v66
	v_pk_mul_f32 v[66:67], v[68:69], 0.5 op_sel_hi:[1,0]
	v_mov_b32_e32 v56, v44
	v_mov_b32_e32 v57, v93
	v_fmac_f32_e32 v15, 0.5, v91
	v_pk_fma_f32 v[66:67], v[68:69], s[12:13], v[66:67] op_sel:[0,0,1] op_sel_hi:[1,1,0] neg_lo:[0,0,1] neg_hi:[0,0,1]
	v_pk_add_f32 v[180:181], v[34:35], v[40:41]
	v_add_f32_e32 v90, v92, v15
	v_pk_add_f32 v[68:69], v[56:57], v[66:67]
	v_sub_f32_e32 v44, v92, v15
	v_pk_add_f32 v[34:35], v[34:35], v[40:41] neg_lo:[0,1] neg_hi:[0,1]
	v_add_u32_e32 v15, 0x400, v111
	s_barrier
	v_add_f32_e32 v91, v45, v19
	v_sub_f32_e32 v45, v45, v19
	ds_write2_b64 v15, v[68:69], v[34:35] offset0:72 offset1:172
	v_accvgpr_write_b32 a66, v15
	v_pk_add_f32 v[34:35], v[56:57], v[66:67] neg_lo:[0,1] neg_hi:[0,1]
	v_add_u32_e32 v15, 0x800, v111
	v_pk_add_f32 v[60:61], v[4:5], v[6:7]
	v_pk_add_f32 v[4:5], v[0:1], v[88:89]
	ds_write2_b64 v15, v[44:45], v[34:35] offset0:144 offset1:244
	v_pk_add_f32 v[34:35], v[2:3], v[6:7]
	v_pk_add_f32 v[2:3], v[2:3], v[6:7] neg_lo:[0,1] neg_hi:[0,1]
	v_pk_add_f32 v[40:41], v[88:89], v[8:9]
	v_pk_add_f32 v[64:65], v[4:5], v[8:9]
	v_pk_fma_f32 v[34:35], v[34:35], 0.5, v[58:59] op_sel_hi:[1,0,1] neg_lo:[1,0,0] neg_hi:[1,0,0]
	v_pk_mul_f32 v[2:3], v[2:3], s[12:13] op_sel_hi:[1,0]
	v_pk_fma_f32 v[0:1], v[40:41], 0.5, v[0:1] op_sel_hi:[1,0,1] neg_lo:[1,0,0] neg_hi:[1,0,0]
	v_pk_add_f32 v[8:9], v[88:89], v[8:9] neg_lo:[0,1] neg_hi:[0,1]
	v_pk_add_f32 v[6:7], v[2:3], v[34:35] op_sel:[1,0] op_sel_hi:[0,1]
	v_pk_add_f32 v[2:3], v[34:35], v[2:3] op_sel:[0,1] op_sel_hi:[1,0] neg_lo:[0,1] neg_hi:[0,1]
	v_pk_fma_f32 v[40:41], v[8:9], s[12:13], v[0:1] op_sel:[0,0,1] op_sel_hi:[1,0,0]
	v_pk_fma_f32 v[0:1], v[8:9], s[12:13], v[0:1] op_sel:[0,0,1] op_sel_hi:[1,0,0] neg_lo:[1,0,0] neg_hi:[1,0,0]
	v_mov_b32_e32 v34, v2
	v_mov_b32_e32 v35, v7
	;; [unrolled: 1-line block ×4, first 2 shown]
	v_mul_f32_e32 v2, 0x3f5db3d7, v0
	v_mul_f32_e32 v7, 0xbf5db3d7, v41
	v_fmac_f32_e32 v2, 0.5, v41
	v_fmac_f32_e32 v7, 0.5, v0
	v_pk_mul_f32 v[0:1], v[8:9], 0.5 op_sel_hi:[1,0]
	v_pk_add_f32 v[4:5], v[60:61], v[64:65]
	v_add_f32_e32 v40, v6, v2
	v_add_f32_e32 v41, v3, v7
	v_pk_fma_f32 v[0:1], v[8:9], s[12:13], v[0:1] op_sel:[0,0,1] op_sel_hi:[1,1,0] neg_lo:[0,0,1] neg_hi:[0,0,1]
	ds_write2_b64 v111, v[180:181], v[90:91] offset1:100
	v_pk_add_f32 v[8:9], v[34:35], v[0:1]
	v_sub_f32_e32 v2, v6, v2
	ds_write2_b64 v107, v[4:5], v[40:41] offset1:100
	v_pk_add_f32 v[4:5], v[60:61], v[64:65] neg_lo:[0,1] neg_hi:[0,1]
	v_add_u32_e32 v6, 0x400, v107
	v_sub_f32_e32 v3, v3, v7
	ds_write2_b64 v6, v[8:9], v[4:5] offset0:72 offset1:172
	v_pk_add_f32 v[0:1], v[34:35], v[0:1] neg_lo:[0,1] neg_hi:[0,1]
	v_add_u32_e32 v4, 0x800, v107
	ds_write2_b64 v4, v[2:3], v[0:1] offset0:144 offset1:244
	v_accvgpr_write_b32 a69, v4
	v_pk_add_f32 v[2:3], v[36:37], v[162:163]
	v_pk_add_f32 v[4:5], v[160:161], v[164:165]
	;; [unrolled: 1-line block ×4, first 2 shown]
	v_accvgpr_write_b32 a68, v6
	v_pk_add_f32 v[6:7], v[2:3], v[4:5] op_sel:[0,1] op_sel_hi:[1,0] neg_lo:[0,1] neg_hi:[0,1]
	v_pk_add_f32 v[2:3], v[2:3], v[4:5] op_sel:[0,1] op_sel_hi:[1,0]
	v_pk_add_f32 v[0:1], v[174:175], v[176:177]
	ds_write2_b64 v103, v[2:3], v[168:169] offset1:100
	v_add_u32_e32 v2, 0x400, v103
	ds_write2_b64 v2, v[0:1], v[6:7] offset0:72 offset1:172
	v_accvgpr_write_b32 a71, v2
	v_pk_add_f32 v[2:3], v[38:39], v[148:149]
	v_pk_add_f32 v[4:5], v[142:143], v[146:147]
	v_pk_add_f32 v[2:3], v[2:3], v[150:151]
	v_pk_add_f32 v[4:5], v[4:5], v[154:155]
	v_pk_add_f32 v[166:167], v[174:175], v[176:177] neg_lo:[0,1] neg_hi:[0,1]
	v_add_u32_e32 v0, 0x800, v103
	v_pk_add_f32 v[6:7], v[2:3], v[4:5] op_sel:[0,1] op_sel_hi:[1,0] neg_lo:[0,1] neg_hi:[0,1]
	v_pk_add_f32 v[2:3], v[2:3], v[4:5] op_sel:[0,1] op_sel_hi:[1,0]
	ds_write2_b64 v0, v[62:63], v[166:167] offset0:144 offset1:244
	v_accvgpr_write_b32 a72, v0
	v_pk_add_f32 v[0:1], v[156:157], v[158:159]
	ds_write2_b64 v99, v[2:3], v[152:153] offset1:100
	v_add_u32_e32 v2, 0x400, v99
	ds_write2_b64 v2, v[0:1], v[6:7] offset0:72 offset1:172
	v_accvgpr_write_b32 a74, v2
	v_pk_add_f32 v[2:3], v[32:33], v[132:133]
	v_pk_add_f32 v[4:5], v[46:47], v[128:129]
	;; [unrolled: 1-line block ×4, first 2 shown]
	v_pk_add_f32 v[144:145], v[156:157], v[158:159] neg_lo:[0,1] neg_hi:[0,1]
	v_add_u32_e32 v0, 0x800, v99
	v_pk_add_f32 v[6:7], v[2:3], v[4:5] op_sel:[0,1] op_sel_hi:[1,0] neg_lo:[0,1] neg_hi:[0,1]
	v_pk_add_f32 v[2:3], v[2:3], v[4:5] op_sel:[0,1] op_sel_hi:[1,0]
	ds_write2_b64 v0, v[70:71], v[144:145] offset0:144 offset1:244
	v_accvgpr_write_b32 a75, v0
	v_pk_add_f32 v[0:1], v[138:139], v[140:141]
	ds_write2_b64 v75, v[2:3], v[134:135] offset1:100
	v_add_u32_e32 v2, 0x400, v75
	ds_write2_b64 v2, v[0:1], v[6:7] offset0:72 offset1:172
	v_add_u32_e32 v0, 0x800, v75
	ds_write2_b64 v0, v[42:43], v[178:179] offset0:144 offset1:244
	v_accvgpr_write_b32 a79, v0
	v_mad_u64_u32 v[0:1], s[6:7], v228, 40, s[6:7]
	v_add_co_u32_e32 v4, vcc, s3, v0
	s_mov_b64 s[6:7], 0x1270
	s_nop 0
	v_addc_co_u32_e32 v5, vcc, 0, v1, vcc
	v_accvgpr_write_b32 a78, v2
	s_waitcnt lgkmcnt(0)
	s_barrier
	v_lshl_add_u64 v[2:3], v[0:1], 0, s[6:7]
	global_load_dwordx4 v[222:225], v[4:5], off offset:624
	global_load_dwordx2 v[214:215], v[2:3], off offset:32
	global_load_dwordx4 v[88:91], v[2:3], off offset:16
	v_add_co_u32_e32 v4, vcc, s18, v0
	s_mov_b64 s[6:7], 0x2530
	s_nop 0
	v_addc_co_u32_e32 v5, vcc, 0, v1, vcc
	v_lshl_add_u64 v[2:3], v[0:1], 0, s[6:7]
	global_load_dwordx4 v[68:71], v[4:5], off offset:1328
	global_load_dwordx2 v[216:217], v[2:3], off offset:32
	global_load_dwordx4 v[64:67], v[2:3], off offset:16
	v_add_co_u32_e32 v4, vcc, s19, v0
	s_mov_b64 s[6:7], 0x37f0
	s_nop 0
	v_addc_co_u32_e32 v5, vcc, 0, v1, vcc
	v_lshl_add_u64 v[2:3], v[0:1], 0, s[6:7]
	global_load_dwordx4 v[60:63], v[4:5], off offset:2032
	global_load_dwordx2 v[218:219], v[2:3], off offset:32
	global_load_dwordx4 v[56:59], v[2:3], off offset:16
	s_mov_b64 s[6:7], 0x4ab0
	v_add_co_u32_e32 v4, vcc, s20, v0
	v_lshl_add_u64 v[2:3], v[0:1], 0, s[6:7]
	s_nop 0
	v_addc_co_u32_e32 v5, vcc, 0, v1, vcc
	s_mov_b64 s[6:7], 0x5d70
	global_load_dwordx4 v[44:47], v[4:5], off offset:2736
	global_load_dwordx2 v[230:231], v[2:3], off offset:32
	global_load_dwordx4 v[40:43], v[2:3], off offset:16
	v_lshl_add_u64 v[2:3], v[0:1], 0, s[6:7]
	v_add_co_u32_e32 v0, vcc, s22, v0
	v_accvgpr_write_b32 a7, v15
	s_nop 0
	v_addc_co_u32_e32 v1, vcc, 0, v1, vcc
	global_load_dwordx4 v[36:39], v[0:1], off offset:3440
	global_load_dwordx2 v[92:93], v[2:3], off offset:32
	global_load_dwordx4 v[32:35], v[2:3], off offset:16
	ds_read2_b64 v[134:137], v246 offset1:120
	ds_read2_b64 v[128:131], v227 offset0:96 offset1:216
	ds_read2_b64 v[154:157], v248 offset0:48 offset1:168
	;; [unrolled: 1-line block ×5, first 2 shown]
	v_mov_b32_e32 v19, v188
	v_mov_b32_e32 v31, v23
	;; [unrolled: 1-line block ×5, first 2 shown]
	s_mov_b32 s6, -0.5
	s_mov_b32 s7, s12
	s_waitcnt vmcnt(14) lgkmcnt(4)
	v_pk_mul_f32 v[0:1], v[130:131], v[222:223] op_sel:[0,1]
	s_nop 0
	v_pk_fma_f32 v[160:161], v[130:131], v[222:223], v[0:1] op_sel:[0,0,1] op_sel_hi:[1,1,0] neg_lo:[0,0,1] neg_hi:[0,0,1]
	v_pk_fma_f32 v[0:1], v[130:131], v[222:223], v[0:1] op_sel:[0,0,1] op_sel_hi:[1,0,0]
	v_mov_b32_e32 v2, v225
	v_mov_b32_e32 v161, v1
	s_waitcnt lgkmcnt(3)
	v_pk_mul_f32 v[0:1], v[154:155], v[2:3] op_sel_hi:[1,0]
	s_waitcnt vmcnt(12)
	v_mov_b32_e32 v2, v91
	v_pk_fma_f32 v[170:171], v[154:155], v[224:225], v[0:1] op_sel:[0,0,1] op_sel_hi:[1,1,0] neg_lo:[0,0,1] neg_hi:[0,0,1]
	v_pk_fma_f32 v[0:1], v[154:155], v[224:225], v[0:1] op_sel:[0,0,1] op_sel_hi:[1,0,0]
	s_waitcnt vmcnt(9)
	v_mov_b32_e32 v8, v67
	v_mov_b32_e32 v171, v1
	s_waitcnt lgkmcnt(2)
	v_pk_mul_f32 v[0:1], v[144:145], v[88:89] op_sel:[0,1]
	v_accvgpr_write_b32 a114, v71
	v_pk_fma_f32 v[166:167], v[144:145], v[88:89], v[0:1] op_sel:[0,0,1] op_sel_hi:[1,1,0] neg_lo:[0,0,1] neg_hi:[0,0,1]
	v_pk_fma_f32 v[0:1], v[144:145], v[88:89], v[0:1] op_sel:[0,0,1] op_sel_hi:[1,0,0]
	v_accvgpr_write_b32 a106, v225
	v_mov_b32_e32 v167, v1
	s_waitcnt lgkmcnt(1)
	v_pk_mul_f32 v[0:1], v[146:147], v[2:3] op_sel_hi:[1,0]
	v_accvgpr_write_b32 a108, v91
	v_pk_fma_f32 v[174:175], v[146:147], v[90:91], v[0:1] op_sel:[0,0,1] op_sel_hi:[1,1,0] neg_lo:[0,0,1] neg_hi:[0,0,1]
	v_pk_fma_f32 v[0:1], v[146:147], v[90:91], v[0:1] op_sel:[0,0,1] op_sel_hi:[1,0,0]
	ds_read2_b64 v[178:181], v254 offset0:80 offset1:200
	ds_read2_b64 v[152:155], v249 offset0:128 offset1:248
	;; [unrolled: 1-line block ×3, first 2 shown]
	v_mov_b32_e32 v175, v1
	s_waitcnt lgkmcnt(3)
	v_pk_mul_f32 v[0:1], v[140:141], v[214:215] op_sel:[0,1]
	s_waitcnt vmcnt(6)
	v_accvgpr_write_b32 a120, v59
	v_pk_fma_f32 v[168:169], v[140:141], v[214:215], v[0:1] op_sel:[0,0,1] op_sel_hi:[1,1,0] neg_lo:[0,0,1] neg_hi:[0,0,1]
	v_pk_fma_f32 v[0:1], v[140:141], v[214:215], v[0:1] op_sel:[0,0,1] op_sel_hi:[1,0,0]
	s_waitcnt lgkmcnt(1)
	v_pk_mul_f32 v[6:7], v[152:153], v[64:65] op_sel:[0,1]
	v_mov_b32_e32 v169, v1
	v_pk_add_f32 v[0:1], v[134:135], v[170:171]
	s_waitcnt lgkmcnt(0)
	v_pk_mul_f32 v[130:131], v[144:145], v[216:217] op_sel:[0,1]
	v_pk_add_f32 v[162:163], v[0:1], v[174:175]
	v_pk_add_f32 v[0:1], v[160:161], v[166:167]
	s_waitcnt vmcnt(0)
	v_accvgpr_write_b32 a128, v35
	v_pk_add_f32 v[164:165], v[0:1], v[168:169]
	v_pk_mul_f32 v[0:1], v[178:179], v[68:69] op_sel:[0,1]
	v_pk_add_f32 v[140:141], v[162:163], v[164:165]
	v_pk_fma_f32 v[2:3], v[178:179], v[68:69], v[0:1] op_sel:[0,0,1] op_sel_hi:[1,1,0] neg_lo:[0,0,1] neg_hi:[0,0,1]
	v_pk_fma_f32 v[0:1], v[178:179], v[68:69], v[0:1] op_sel:[0,0,1] op_sel_hi:[1,0,0]
	v_accvgpr_write_b32 a126, v39
	v_mov_b32_e32 v0, v71
	v_pk_mul_f32 v[4:5], v[156:157], v[0:1] op_sel_hi:[1,0]
	v_mov_b32_e32 v3, v1
	v_pk_fma_f32 v[0:1], v[156:157], v[70:71], v[4:5] op_sel:[0,0,1] op_sel_hi:[1,1,0] neg_lo:[0,0,1] neg_hi:[0,0,1]
	v_pk_fma_f32 v[4:5], v[156:157], v[70:71], v[4:5] op_sel:[0,0,1] op_sel_hi:[1,0,0]
	v_mov_b32_e32 v71, v254
	v_mov_b32_e32 v1, v5
	v_pk_fma_f32 v[4:5], v[152:153], v[64:65], v[6:7] op_sel:[0,0,1] op_sel_hi:[1,1,0] neg_lo:[0,0,1] neg_hi:[0,0,1]
	v_pk_fma_f32 v[6:7], v[152:153], v[64:65], v[6:7] op_sel:[0,0,1] op_sel_hi:[1,0,0]
	v_mov_b32_e32 v225, v226
	v_mov_b32_e32 v5, v7
	v_pk_mul_f32 v[6:7], v[148:149], v[8:9] op_sel_hi:[1,0]
	v_mov_b32_e32 v91, v250
	v_pk_fma_f32 v[8:9], v[148:149], v[66:67], v[6:7] op_sel:[0,0,1] op_sel_hi:[1,1,0] neg_lo:[0,0,1] neg_hi:[0,0,1]
	v_pk_fma_f32 v[6:7], v[148:149], v[66:67], v[6:7] op_sel:[0,0,1] op_sel_hi:[1,0,0]
	v_mov_b32_e32 v148, v63
	v_mov_b32_e32 v9, v7
	v_pk_fma_f32 v[6:7], v[144:145], v[216:217], v[130:131] op_sel:[0,0,1] op_sel_hi:[1,1,0] neg_lo:[0,0,1] neg_hi:[0,0,1]
	v_pk_fma_f32 v[130:131], v[144:145], v[216:217], v[130:131] op_sel:[0,0,1] op_sel_hi:[1,0,0]
	v_pk_mul_f32 v[144:145], v[180:181], v[60:61] op_sel:[0,1]
	v_mov_b32_e32 v7, v131
	v_pk_add_f32 v[130:131], v[136:137], v[0:1]
	v_pk_fma_f32 v[184:185], v[180:181], v[60:61], v[144:145] op_sel:[0,0,1] op_sel_hi:[1,1,0] neg_lo:[0,0,1] neg_hi:[0,0,1]
	v_pk_add_f32 v[176:177], v[130:131], v[8:9]
	v_pk_add_f32 v[130:131], v[2:3], v[4:5]
	v_pk_fma_f32 v[144:145], v[180:181], v[60:61], v[144:145] op_sel:[0,0,1] op_sel_hi:[1,0,0]
	v_pk_add_f32 v[178:179], v[130:131], v[6:7]
	ds_read2_b64 v[130:133], v226 offset0:112 offset1:232
	ds_read2_b64 v[156:159], v250 offset0:32 offset1:152
	;; [unrolled: 1-line block ×3, first 2 shown]
	v_mov_b32_e32 v185, v145
	v_pk_add_f32 v[202:203], v[0:1], v[8:9]
	v_pk_add_f32 v[0:1], v[0:1], v[8:9] neg_lo:[0,1] neg_hi:[0,1]
	s_waitcnt lgkmcnt(1)
	v_pk_mul_f32 v[144:145], v[156:157], v[148:149] op_sel_hi:[1,0]
	v_pk_fma_f32 v[136:137], v[202:203], 0.5, v[136:137] op_sel_hi:[1,0,1] neg_lo:[1,0,0] neg_hi:[1,0,0]
	v_pk_fma_f32 v[186:187], v[156:157], v[62:63], v[144:145] op_sel:[0,0,1] op_sel_hi:[1,1,0] neg_lo:[0,0,1] neg_hi:[0,0,1]
	v_pk_fma_f32 v[144:145], v[156:157], v[62:63], v[144:145] op_sel:[0,0,1] op_sel_hi:[1,0,0]
	v_pk_add_f32 v[202:203], v[4:5], v[6:7]
	v_mov_b32_e32 v187, v145
	v_pk_mul_f32 v[144:145], v[154:155], v[56:57] op_sel:[0,1]
	v_pk_fma_f32 v[2:3], v[202:203], 0.5, v[2:3] op_sel_hi:[1,0,1] neg_lo:[1,0,0] neg_hi:[1,0,0]
	v_pk_fma_f32 v[194:195], v[154:155], v[56:57], v[144:145] op_sel:[0,0,1] op_sel_hi:[1,1,0] neg_lo:[0,0,1] neg_hi:[0,0,1]
	v_pk_fma_f32 v[144:145], v[154:155], v[56:57], v[144:145] op_sel:[0,0,1] op_sel_hi:[1,0,0]
	ds_read2_b64 v[154:157], v255 offset0:64 offset1:184
	v_pk_add_f32 v[4:5], v[4:5], v[6:7] neg_lo:[0,1] neg_hi:[0,1]
	v_mov_b32_e32 v148, v59
	v_pk_fma_f32 v[6:7], v[4:5], s[12:13], v[2:3] op_sel:[0,0,1] op_sel_hi:[1,0,0]
	v_pk_fma_f32 v[2:3], v[4:5], s[12:13], v[2:3] op_sel:[0,0,1] op_sel_hi:[1,0,0] neg_lo:[1,0,0] neg_hi:[1,0,0]
	v_mov_b32_e32 v195, v145
	s_waitcnt lgkmcnt(1)
	v_pk_mul_f32 v[144:145], v[150:151], v[148:149] op_sel_hi:[1,0]
	v_mov_b32_e32 v4, v6
	v_mul_f32_e32 v6, 0x3f5db3d7, v2
	v_pk_fma_f32 v[196:197], v[150:151], v[58:59], v[144:145] op_sel:[0,0,1] op_sel_hi:[1,1,0] neg_lo:[0,0,1] neg_hi:[0,0,1]
	v_pk_fma_f32 v[144:145], v[150:151], v[58:59], v[144:145] op_sel:[0,0,1] op_sel_hi:[1,0,0]
	v_pk_mul_f32 v[0:1], v[0:1], s[12:13] op_sel_hi:[1,0]
	v_fmac_f32_e32 v6, 0.5, v7
	v_mul_f32_e32 v7, 0xbf5db3d7, v7
	v_mov_b32_e32 v197, v145
	v_pk_mul_f32 v[144:145], v[146:147], v[218:219] op_sel:[0,1]
	ds_read2_b64 v[148:151], v188 offset0:112 offset1:232
	v_pk_add_f32 v[8:9], v[0:1], v[136:137] op_sel:[1,0] op_sel_hi:[0,1]
	v_pk_add_f32 v[136:137], v[136:137], v[0:1] op_sel:[0,1] op_sel_hi:[1,0] neg_lo:[0,1] neg_hi:[0,1]
	v_fmac_f32_e32 v7, 0.5, v2
	v_pk_fma_f32 v[200:201], v[146:147], v[218:219], v[144:145] op_sel:[0,0,1] op_sel_hi:[1,1,0] neg_lo:[0,0,1] neg_hi:[0,0,1]
	v_pk_fma_f32 v[144:145], v[146:147], v[218:219], v[144:145] op_sel:[0,0,1] op_sel_hi:[1,0,0]
	v_add_f32_e32 v208, v8, v6
	v_add_f32_e32 v209, v137, v7
	v_sub_f32_e32 v206, v8, v6
	v_sub_f32_e32 v207, v137, v7
	s_waitcnt lgkmcnt(1)
	v_pk_mul_f32 v[6:7], v[156:157], v[36:37] op_sel:[0,1]
	v_mov_b32_e32 v201, v145
	v_pk_add_f32 v[144:145], v[130:131], v[186:187]
	v_mov_b32_e32 v0, v136
	v_pk_fma_f32 v[136:137], v[156:157], v[36:37], v[6:7] op_sel:[0,0,1] op_sel_hi:[1,1,0] neg_lo:[0,0,1] neg_hi:[0,0,1]
	v_pk_fma_f32 v[6:7], v[156:157], v[36:37], v[6:7] op_sel:[0,0,1] op_sel_hi:[1,0,0]
	v_mov_b32_e32 v8, v39
	v_pk_add_f32 v[190:191], v[144:145], v[196:197]
	v_pk_add_f32 v[144:145], v[184:185], v[194:195]
	v_mov_b32_e32 v137, v7
	v_pk_mul_f32 v[6:7], v[142:143], v[8:9] op_sel_hi:[1,0]
	v_pk_add_f32 v[192:193], v[144:145], v[200:201]
	ds_read2_b64 v[144:147], v189 offset0:32 offset1:152
	v_pk_fma_f32 v[156:157], v[142:143], v[38:39], v[6:7] op_sel:[0,0,1] op_sel_hi:[1,1,0] neg_lo:[0,0,1] neg_hi:[0,0,1]
	v_pk_fma_f32 v[6:7], v[142:143], v[38:39], v[6:7] op_sel:[0,0,1] op_sel_hi:[1,0,0]
	v_mov_b32_e32 v8, v35
	v_mov_b32_e32 v157, v7
	s_waitcnt lgkmcnt(1)
	v_pk_mul_f32 v[6:7], v[150:151], v[32:33] op_sel:[0,1]
	v_mov_b32_e32 v1, v9
	v_pk_fma_f32 v[202:203], v[150:151], v[32:33], v[6:7] op_sel:[0,0,1] op_sel_hi:[1,1,0] neg_lo:[0,0,1] neg_hi:[0,0,1]
	v_pk_fma_f32 v[6:7], v[150:151], v[32:33], v[6:7] op_sel:[0,0,1] op_sel_hi:[1,0,0]
	v_mov_b32_e32 v5, v3
	v_mov_b32_e32 v203, v7
	v_pk_mul_f32 v[6:7], v[138:139], v[8:9] op_sel_hi:[1,0]
	v_pk_add_f32 v[8:9], v[170:171], v[174:175] neg_lo:[0,1] neg_hi:[0,1]
	v_pk_fma_f32 v[150:151], v[138:139], v[34:35], v[6:7] op_sel:[0,0,1] op_sel_hi:[1,1,0] neg_lo:[0,0,1] neg_hi:[0,0,1]
	v_pk_fma_f32 v[6:7], v[138:139], v[34:35], v[6:7] op_sel:[0,0,1] op_sel_hi:[1,0,0]
	v_pk_mul_f32 v[8:9], v[8:9], s[12:13] op_sel_hi:[1,0]
	v_mov_b32_e32 v151, v7
	s_waitcnt lgkmcnt(0)
	v_pk_mul_f32 v[6:7], v[146:147], v[92:93] op_sel:[0,1]
	v_pk_mul_f32 v[2:3], v[4:5], 0.5 op_sel_hi:[1,0]
	v_pk_fma_f32 v[204:205], v[146:147], v[92:93], v[6:7] op_sel:[0,0,1] op_sel_hi:[1,1,0] neg_lo:[0,0,1] neg_hi:[0,0,1]
	v_pk_fma_f32 v[6:7], v[146:147], v[92:93], v[6:7] op_sel:[0,0,1] op_sel_hi:[1,0,0]
	v_pk_fma_f32 v[2:3], v[4:5], s[12:13], v[2:3] op_sel:[0,0,1] op_sel_hi:[1,1,0] neg_lo:[0,0,1] neg_hi:[0,0,1]
	v_mov_b32_e32 v205, v7
	v_pk_add_f32 v[6:7], v[128:129], v[156:157]
	v_pk_mul_f32 v[188:189], v[154:155], v[44:45] op_sel:[0,1]
	v_pk_add_f32 v[138:139], v[6:7], v[150:151]
	v_pk_add_f32 v[6:7], v[136:137], v[202:203]
	;; [unrolled: 1-line block ×6, first 2 shown]
	v_pk_fma_f32 v[6:7], v[6:7], 0.5, v[134:135] op_sel_hi:[1,0,1] neg_lo:[1,0,0] neg_hi:[1,0,0]
	v_pk_fma_f32 v[160:161], v[170:171], 0.5, v[160:161] op_sel_hi:[1,0,1] neg_lo:[1,0,0] neg_hi:[1,0,0]
	v_pk_add_f32 v[166:167], v[166:167], v[168:169] neg_lo:[0,1] neg_hi:[0,1]
	v_pk_add_f32 v[134:135], v[8:9], v[6:7] op_sel:[1,0] op_sel_hi:[0,1]
	v_pk_add_f32 v[6:7], v[6:7], v[8:9] op_sel:[0,1] op_sel_hi:[1,0] neg_lo:[0,1] neg_hi:[0,1]
	v_pk_fma_f32 v[168:169], v[166:167], s[12:13], v[160:161] op_sel:[0,0,1] op_sel_hi:[1,0,0]
	v_pk_fma_f32 v[160:161], v[166:167], s[12:13], v[160:161] op_sel:[0,0,1] op_sel_hi:[1,0,0] neg_lo:[1,0,0] neg_hi:[1,0,0]
	v_mov_b32_e32 v8, v6
	v_mov_b32_e32 v166, v168
	;; [unrolled: 1-line block ×3, first 2 shown]
	v_mul_f32_e32 v6, 0x3f5db3d7, v160
	v_mul_f32_e32 v15, 0xbf5db3d7, v169
	v_fmac_f32_e32 v6, 0.5, v169
	v_fmac_f32_e32 v15, 0.5, v160
	v_pk_mul_f32 v[160:161], v[166:167], 0.5 op_sel_hi:[1,0]
	v_mov_b32_e32 v9, v135
	v_add_f32_e32 v168, v134, v6
	v_add_f32_e32 v169, v7, v15
	v_pk_fma_f32 v[160:161], v[166:167], s[12:13], v[160:161] op_sel:[0,0,1] op_sel_hi:[1,1,0] neg_lo:[0,0,1] neg_hi:[0,0,1]
	v_sub_f32_e32 v6, v134, v6
	v_sub_f32_e32 v7, v7, v15
	v_pk_fma_f32 v[172:173], v[154:155], v[44:45], v[188:189] op_sel:[0,0,1] op_sel_hi:[1,1,0] neg_lo:[0,0,1] neg_hi:[0,0,1]
	v_pk_fma_f32 v[154:155], v[154:155], v[44:45], v[188:189] op_sel:[0,0,1] op_sel_hi:[1,0,0]
	v_mov_b32_e32 v188, v47
	v_pk_add_f32 v[166:167], v[8:9], v[160:161]
	ds_write_b64 v246, v[6:7] offset:19200
	ds_write_b64 v246, v[168:169] offset:4800
	ds_write2_b64 v248, v[166:167], v[4:5] offset0:48 offset1:168
	v_pk_add_f32 v[4:5], v[162:163], v[164:165] neg_lo:[0,1] neg_hi:[0,1]
	v_mov_b32_e32 v173, v155
	v_pk_mul_f32 v[154:155], v[158:159], v[188:189] op_sel_hi:[1,0]
	ds_write_b64 v246, v[4:5] offset:14400
	v_pk_add_f32 v[4:5], v[8:9], v[160:161] neg_lo:[0,1] neg_hi:[0,1]
	v_pk_add_f32 v[182:183], v[176:177], v[178:179]
	v_pk_fma_f32 v[188:189], v[158:159], v[46:47], v[154:155] op_sel:[0,0,1] op_sel_hi:[1,1,0] neg_lo:[0,0,1] neg_hi:[0,0,1]
	v_pk_fma_f32 v[154:155], v[158:159], v[46:47], v[154:155] op_sel:[0,0,1] op_sel_hi:[1,0,0]
	v_pk_mul_f32 v[158:159], v[148:149], v[40:41] op_sel:[0,1]
	ds_write_b64 v246, v[4:5] offset:24000
	ds_write2_b64 v246, v[140:141], v[182:183] offset1:120
	v_pk_add_f32 v[4:5], v[176:177], v[178:179] neg_lo:[0,1] neg_hi:[0,1]
	v_mov_b32_e32 v189, v155
	v_pk_fma_f32 v[154:155], v[148:149], v[40:41], v[158:159] op_sel:[0,0,1] op_sel_hi:[1,1,0] neg_lo:[0,0,1] neg_hi:[0,0,1]
	v_pk_fma_f32 v[148:149], v[148:149], v[40:41], v[158:159] op_sel:[0,0,1] op_sel_hi:[1,0,0]
	v_mov_b32_e32 v158, v43
	ds_write_b64 v246, v[4:5] offset:15360
	v_pk_add_f32 v[0:1], v[0:1], v[2:3] neg_lo:[0,1] neg_hi:[0,1]
	v_pk_add_f32 v[2:3], v[186:187], v[196:197]
	v_pk_add_f32 v[4:5], v[186:187], v[196:197] neg_lo:[0,1] neg_hi:[0,1]
	v_pk_add_f32 v[8:9], v[194:195], v[200:201]
	v_mov_b32_e32 v155, v149
	v_pk_mul_f32 v[148:149], v[152:153], v[158:159] op_sel_hi:[1,0]
	v_pk_fma_f32 v[2:3], v[2:3], 0.5, v[130:131] op_sel_hi:[1,0,1] neg_lo:[1,0,0] neg_hi:[1,0,0]
	v_pk_mul_f32 v[4:5], v[4:5], s[12:13] op_sel_hi:[1,0]
	v_pk_fma_f32 v[8:9], v[8:9], 0.5, v[184:185] op_sel_hi:[1,0,1] neg_lo:[1,0,0] neg_hi:[1,0,0]
	v_pk_add_f32 v[130:131], v[194:195], v[200:201] neg_lo:[0,1] neg_hi:[0,1]
	v_pk_fma_f32 v[158:159], v[152:153], v[42:43], v[148:149] op_sel:[0,0,1] op_sel_hi:[1,1,0] neg_lo:[0,0,1] neg_hi:[0,0,1]
	v_pk_fma_f32 v[148:149], v[152:153], v[42:43], v[148:149] op_sel:[0,0,1] op_sel_hi:[1,0,0]
	v_pk_add_f32 v[6:7], v[4:5], v[2:3] op_sel:[1,0] op_sel_hi:[0,1]
	v_pk_add_f32 v[2:3], v[2:3], v[4:5] op_sel:[0,1] op_sel_hi:[1,0] neg_lo:[0,1] neg_hi:[0,1]
	v_pk_fma_f32 v[134:135], v[130:131], s[12:13], v[8:9] op_sel:[0,0,1] op_sel_hi:[1,0,0]
	v_pk_fma_f32 v[8:9], v[130:131], s[12:13], v[8:9] op_sel:[0,0,1] op_sel_hi:[1,0,0] neg_lo:[1,0,0] neg_hi:[1,0,0]
	v_mov_b32_e32 v159, v149
	v_pk_mul_f32 v[148:149], v[144:145], v[230:231] op_sel:[0,1]
	v_mov_b32_e32 v4, v2
	v_mov_b32_e32 v5, v7
	;; [unrolled: 1-line block ×4, first 2 shown]
	v_mul_f32_e32 v2, 0x3f5db3d7, v8
	v_mul_f32_e32 v7, 0xbf5db3d7, v135
	v_pk_fma_f32 v[152:153], v[144:145], v[230:231], v[148:149] op_sel:[0,0,1] op_sel_hi:[1,1,0] neg_lo:[0,0,1] neg_hi:[0,0,1]
	v_pk_fma_f32 v[144:145], v[144:145], v[230:231], v[148:149] op_sel:[0,0,1] op_sel_hi:[1,0,0]
	v_fmac_f32_e32 v2, 0.5, v135
	v_fmac_f32_e32 v7, 0.5, v8
	v_pk_mul_f32 v[8:9], v[130:131], 0.5 op_sel_hi:[1,0]
	v_mov_b32_e32 v153, v145
	v_pk_add_f32 v[144:145], v[132:133], v[188:189]
	v_pk_add_f32 v[148:149], v[172:173], v[154:155]
	v_add_f32_e32 v134, v6, v2
	v_add_f32_e32 v135, v3, v7
	v_pk_fma_f32 v[8:9], v[130:131], s[12:13], v[8:9] op_sel:[0,0,1] op_sel_hi:[1,1,0] neg_lo:[0,0,1] neg_hi:[0,0,1]
	v_sub_f32_e32 v2, v6, v2
	v_sub_f32_e32 v3, v3, v7
	v_add_u32_e32 v15, 0x4c00, v246
	v_pk_add_f32 v[144:145], v[144:145], v[158:159]
	v_pk_add_f32 v[148:149], v[148:149], v[152:153]
	;; [unrolled: 1-line block ×3, first 2 shown]
	ds_write2_b64 v254, v[208:209], v[134:135] offset0:80 offset1:200
	ds_write_b64 v246, v[130:131] offset:11520
	ds_write2_b64 v15, v[206:207], v[2:3] offset0:88 offset1:208
	v_pk_add_f32 v[2:3], v[4:5], v[8:9] neg_lo:[0,1] neg_hi:[0,1]
	v_pk_add_f32 v[180:181], v[190:191], v[192:193]
	v_pk_add_f32 v[198:199], v[144:145], v[148:149]
	ds_write2_b64 v253, v[0:1], v[2:3] offset0:48 offset1:168
	ds_write2_b64 v226, v[180:181], v[198:199] offset0:112 offset1:232
	v_pk_add_f32 v[0:1], v[188:189], v[158:159]
	v_pk_add_f32 v[2:3], v[188:189], v[158:159] neg_lo:[0,1] neg_hi:[0,1]
	v_pk_add_f32 v[8:9], v[154:155], v[152:153]
	v_pk_fma_f32 v[0:1], v[0:1], 0.5, v[132:133] op_sel_hi:[1,0,1] neg_lo:[1,0,0] neg_hi:[1,0,0]
	v_pk_mul_f32 v[2:3], v[2:3], s[12:13] op_sel_hi:[1,0]
	v_pk_fma_f32 v[8:9], v[8:9], 0.5, v[172:173] op_sel_hi:[1,0,1] neg_lo:[1,0,0] neg_hi:[1,0,0]
	v_pk_add_f32 v[130:131], v[154:155], v[152:153] neg_lo:[0,1] neg_hi:[0,1]
	v_pk_add_f32 v[4:5], v[2:3], v[0:1] op_sel:[1,0] op_sel_hi:[0,1]
	v_pk_fma_f32 v[132:133], v[130:131], s[12:13], v[8:9] op_sel:[0,0,1] op_sel_hi:[1,0,0]
	v_pk_fma_f32 v[8:9], v[130:131], s[12:13], v[8:9] op_sel:[0,0,1] op_sel_hi:[1,0,0] neg_lo:[1,0,0] neg_hi:[1,0,0]
	v_pk_add_f32 v[0:1], v[0:1], v[2:3] op_sel:[0,1] op_sel_hi:[1,0] neg_lo:[0,1] neg_hi:[0,1]
	v_mov_b32_e32 v3, v5
	v_mov_b32_e32 v130, v132
	;; [unrolled: 1-line block ×3, first 2 shown]
	v_mul_f32_e32 v5, 0xbf5db3d7, v133
	v_mov_b32_e32 v2, v0
	v_mul_f32_e32 v0, 0x3f5db3d7, v8
	v_fmac_f32_e32 v5, 0.5, v8
	v_pk_mul_f32 v[8:9], v[130:131], 0.5 op_sel_hi:[1,0]
	v_fmac_f32_e32 v0, 0.5, v133
	v_pk_fma_f32 v[8:9], v[130:131], s[12:13], v[8:9] op_sel:[0,0,1] op_sel_hi:[1,1,0] neg_lo:[0,0,1] neg_hi:[0,0,1]
	v_pk_add_f32 v[6:7], v[190:191], v[192:193] neg_lo:[0,1] neg_hi:[0,1]
	v_mov_b32_e32 v23, v15
	v_add_f32_e32 v132, v4, v0
	v_add_f32_e32 v133, v1, v5
	v_pk_add_f32 v[130:131], v[2:3], v[8:9]
	v_sub_f32_e32 v0, v4, v0
	v_sub_f32_e32 v1, v1, v5
	v_pk_add_f32 v[4:5], v[144:145], v[148:149] neg_lo:[0,1] neg_hi:[0,1]
	v_add_u32_e32 v15, 0x3c00, v246
	ds_write_b64 v246, v[130:131] offset:12480
	ds_write2_b64 v15, v[6:7], v[4:5] offset0:120 offset1:240
	ds_write_b64 v246, v[0:1] offset:22080
	v_pk_add_f32 v[0:1], v[2:3], v[8:9] neg_lo:[0,1] neg_hi:[0,1]
	v_pk_add_f32 v[146:147], v[138:139], v[142:143]
	ds_write_b64 v246, v[0:1] offset:26880
	ds_write_b64 v246, v[146:147] offset:3840
	v_pk_add_f32 v[0:1], v[156:157], v[150:151]
	v_pk_add_f32 v[2:3], v[156:157], v[150:151] neg_lo:[0,1] neg_hi:[0,1]
	v_pk_add_f32 v[6:7], v[202:203], v[204:205]
	v_pk_fma_f32 v[0:1], v[0:1], 0.5, v[128:129] op_sel_hi:[1,0,1] neg_lo:[1,0,0] neg_hi:[1,0,0]
	v_pk_mul_f32 v[2:3], v[2:3], s[12:13] op_sel_hi:[1,0]
	v_pk_fma_f32 v[6:7], v[6:7], 0.5, v[136:137] op_sel_hi:[1,0,1] neg_lo:[1,0,0] neg_hi:[1,0,0]
	v_pk_add_f32 v[8:9], v[202:203], v[204:205] neg_lo:[0,1] neg_hi:[0,1]
	v_pk_add_f32 v[4:5], v[2:3], v[0:1] op_sel:[1,0] op_sel_hi:[0,1]
	v_pk_add_f32 v[0:1], v[0:1], v[2:3] op_sel:[0,1] op_sel_hi:[1,0] neg_lo:[0,1] neg_hi:[0,1]
	v_pk_fma_f32 v[128:129], v[8:9], s[12:13], v[6:7] op_sel:[0,0,1] op_sel_hi:[1,0,0]
	v_pk_fma_f32 v[6:7], v[8:9], s[12:13], v[6:7] op_sel:[0,0,1] op_sel_hi:[1,0,0] neg_lo:[1,0,0] neg_hi:[1,0,0]
	v_mov_b32_e32 v2, v0
	v_mov_b32_e32 v3, v5
	;; [unrolled: 1-line block ×4, first 2 shown]
	v_mul_f32_e32 v0, 0x3f5db3d7, v6
	v_mul_f32_e32 v5, 0xbf5db3d7, v129
	v_fmac_f32_e32 v0, 0.5, v129
	v_fmac_f32_e32 v5, 0.5, v6
	v_pk_mul_f32 v[6:7], v[8:9], 0.5 op_sel_hi:[1,0]
	v_add_f32_e32 v128, v4, v0
	v_add_f32_e32 v129, v1, v5
	v_pk_fma_f32 v[6:7], v[8:9], s[12:13], v[6:7] op_sel:[0,0,1] op_sel_hi:[1,1,0] neg_lo:[0,0,1] neg_hi:[0,0,1]
	v_sub_f32_e32 v0, v4, v0
	v_sub_f32_e32 v1, v1, v5
	v_pk_add_f32 v[4:5], v[138:139], v[142:143] neg_lo:[0,1] neg_hi:[0,1]
	v_pk_add_f32 v[8:9], v[2:3], v[6:7]
	ds_write2_b64 v255, v[132:133], v[128:129] offset0:64 offset1:184
	ds_write_b64 v246, v[8:9] offset:13440
	ds_write_b64 v246, v[4:5] offset:18240
	;; [unrolled: 1-line block ×3, first 2 shown]
	v_pk_add_f32 v[0:1], v[2:3], v[6:7] neg_lo:[0,1] neg_hi:[0,1]
	ds_write_b64 v246, v[0:1] offset:27840
	s_waitcnt lgkmcnt(0)
	s_barrier
	global_load_dwordx2 v[0:1], v246, s[16:17]
	ds_read2_b64 v[128:131], v246 offset1:120
	v_lshl_add_u64 v[8:9], s[16:17], 0, v[246:247]
	v_add_co_u32_e32 v162, vcc, s3, v8
	v_mov_b32_e32 v27, v15
	s_nop 0
	v_addc_co_u32_e32 v163, vcc, 0, v9, vcc
	v_add_co_u32_e32 v164, vcc, s18, v8
	v_mov_b32_e32 v35, v19
	s_nop 0
	v_addc_co_u32_e32 v165, vcc, 0, v9, vcc
	v_add_co_u32_e32 v166, vcc, s19, v8
	s_mov_b32 s18, 0xbe9e377a
	s_nop 0
	v_addc_co_u32_e32 v167, vcc, 0, v9, vcc
	v_add_co_u32_e32 v168, vcc, s20, v8
	s_mov_b32 s19, s4
	;; [unrolled: 4-line block ×3, first 2 shown]
	s_nop 0
	v_addc_co_u32_e32 v179, vcc, 0, v9, vcc
	v_mov_b32_e32 v39, v255
	v_mov_b32_e32 v59, v251
	v_accvgpr_write_b32 a116, v67
	v_mov_b32_e32 v67, v253
	v_mov_b32_e32 v247, v248
	v_accvgpr_write_b32 a118, v63
	v_mov_b32_e32 v63, v51
	v_accvgpr_write_b32 a124, v43
	;; [unrolled: 2-line block ×3, first 2 shown]
	v_mov_b32_e32 v47, v31
	s_waitcnt vmcnt(0) lgkmcnt(0)
	v_mul_f32_e32 v2, v129, v1
	v_mul_f32_e32 v3, v128, v1
	v_fma_f32 v2, v128, v0, -v2
	v_fmac_f32_e32 v3, v129, v0
	ds_write_b64 v246, v[2:3]
	global_load_dwordx2 v[2:3], v246, s[16:17] offset:2880
	global_load_dwordx2 v[128:129], v[168:169], off offset:3776
	ds_read2_b64 v[132:135], v226 offset0:112 offset1:232
	ds_read2_b64 v[142:145], v254 offset0:80 offset1:200
	;; [unrolled: 1-line block ×6, first 2 shown]
	s_waitcnt vmcnt(1) lgkmcnt(5)
	v_mul_f32_e32 v0, v135, v3
	v_mul_f32_e32 v1, v134, v3
	v_fma_f32 v0, v134, v2, -v0
	v_fmac_f32_e32 v1, v135, v2
	global_load_dwordx2 v[2:3], v[162:163], off offset:1664
	ds_read2_b64 v[134:137], v255 offset0:64 offset1:184
	s_waitcnt vmcnt(0) lgkmcnt(5)
	v_mul_f32_e32 v4, v143, v3
	v_fma_f32 v170, v142, v2, -v4
	global_load_dwordx2 v[4:5], v[164:165], off offset:448
	v_mul_f32_e32 v171, v142, v3
	v_fmac_f32_e32 v171, v143, v2
	s_waitcnt vmcnt(0) lgkmcnt(0)
	v_mul_f32_e32 v2, v137, v5
	v_mul_f32_e32 v3, v136, v5
	v_fma_f32 v2, v136, v4, -v2
	v_fmac_f32_e32 v3, v137, v4
	global_load_dwordx2 v[4:5], v[164:165], off offset:3328
	ds_read2_b64 v[136:139], v251 offset0:16 offset1:136
	s_waitcnt vmcnt(0)
	v_mul_f32_e32 v6, v147, v5
	v_fma_f32 v172, v146, v4, -v6
	global_load_dwordx2 v[6:7], v[166:167], off offset:2112
	v_mul_f32_e32 v173, v146, v5
	v_fmac_f32_e32 v173, v147, v4
	s_waitcnt vmcnt(0) lgkmcnt(0)
	v_mul_f32_e32 v4, v139, v7
	v_mul_f32_e32 v5, v138, v7
	v_fma_f32 v4, v138, v6, -v4
	v_fmac_f32_e32 v5, v139, v6
	global_load_dwordx2 v[6:7], v[168:169], off offset:896
	ds_read2_b64 v[138:141], v31 offset0:96 offset1:216
	s_waitcnt vmcnt(0)
	v_mul_f32_e32 v15, v151, v7
	v_mul_f32_e32 v175, v150, v7
	v_fma_f32 v174, v150, v6, -v15
	v_fmac_f32_e32 v175, v151, v6
	s_waitcnt lgkmcnt(0)
	v_mul_f32_e32 v6, v141, v129
	v_mul_f32_e32 v7, v140, v129
	v_fma_f32 v6, v140, v128, -v6
	v_fmac_f32_e32 v7, v141, v128
	global_load_dwordx2 v[128:129], v[178:179], off offset:2560
	ds_read2_b64 v[140:143], v253 offset0:48 offset1:168
	s_waitcnt vmcnt(0)
	v_mul_f32_e32 v15, v155, v129
	v_fma_f32 v176, v154, v128, -v15
	v_mul_f32_e32 v177, v154, v129
	v_add_co_u32_e32 v154, vcc, s21, v8
	v_fmac_f32_e32 v177, v155, v128
	s_nop 0
	v_addc_co_u32_e32 v155, vcc, 0, v9, vcc
	global_load_dwordx2 v[8:9], v[154:155], off offset:1344
	s_mov_b32 s21, s8
	s_waitcnt vmcnt(0) lgkmcnt(0)
	v_mul_f32_e32 v15, v143, v9
	v_mul_f32_e32 v183, v142, v9
	v_fma_f32 v182, v142, v8, -v15
	v_fmac_f32_e32 v183, v143, v8
	global_load_dwordx2 v[8:9], v246, s[16:17] offset:960
	s_waitcnt vmcnt(0)
	v_mul_f32_e32 v15, v131, v9
	v_mul_f32_e32 v181, v130, v9
	v_fma_f32 v180, v130, v8, -v15
	v_fmac_f32_e32 v181, v131, v8
	global_load_dwordx2 v[8:9], v246, s[16:17] offset:3840
	s_waitcnt vmcnt(0)
	v_mul_f32_e32 v15, v159, v9
	v_mul_f32_e32 v129, v158, v9
	v_fma_f32 v128, v158, v8, -v15
	v_fmac_f32_e32 v129, v159, v8
	v_add_u32_e32 v8, 0x800, v246
	ds_write2_b64 v8, v[0:1], v[128:129] offset0:104 offset1:224
	global_load_dwordx2 v[0:1], v[162:163], off offset:2624
	ds_read2_b64 v[128:131], v51 offset0:32 offset1:152
	s_waitcnt vmcnt(0)
	v_mul_f32_e32 v8, v145, v1
	v_mul_f32_e32 v159, v144, v1
	v_fma_f32 v158, v144, v0, -v8
	v_fmac_f32_e32 v159, v145, v0
	global_load_dwordx2 v[0:1], v[164:165], off offset:1408
	ds_read2_b64 v[142:145], v248 offset0:48 offset1:168
	s_waitcnt vmcnt(0) lgkmcnt(0)
	v_mul_f32_e32 v8, v143, v1
	v_mul_f32_e32 v9, v142, v1
	v_fma_f32 v8, v142, v0, -v8
	v_fmac_f32_e32 v9, v143, v0
	v_add_u32_e32 v0, 0x2000, v246
	ds_write2_b64 v0, v[2:3], v[8:9] offset0:56 offset1:176
	global_load_dwordx2 v[0:1], v[166:167], off offset:192
	s_waitcnt vmcnt(0)
	v_mul_f32_e32 v2, v149, v1
	v_mul_f32_e32 v9, v148, v1
	v_fma_f32 v8, v148, v0, -v2
	v_fmac_f32_e32 v9, v149, v0
	v_accvgpr_read_b32 v0, a87
	global_load_dwordx2 v[0:1], v0, s[16:17]
	ds_read2_b64 v[146:149], v249 offset0:128 offset1:248
	v_accvgpr_write_b32 a87, v23
	s_waitcnt vmcnt(0) lgkmcnt(0)
	v_mul_f32_e32 v2, v147, v1
	v_mul_f32_e32 v3, v146, v1
	v_fma_f32 v2, v146, v0, -v2
	v_fmac_f32_e32 v3, v147, v0
	global_load_dwordx2 v[0:1], v[168:169], off offset:1856
	ds_write2_b64 v249, v[4:5], v[2:3] offset0:8 offset1:128
	s_waitcnt vmcnt(0)
	v_mul_f32_e32 v2, v153, v1
	v_mul_f32_e32 v3, v152, v1
	v_fma_f32 v2, v152, v0, -v2
	v_fmac_f32_e32 v3, v153, v0
	global_load_dwordx2 v[0:1], v[178:179], off offset:640
	ds_read2_b64 v[150:153], v55 offset0:80 offset1:200
	s_waitcnt vmcnt(0) lgkmcnt(0)
	v_mul_f32_e32 v4, v151, v1
	v_mul_f32_e32 v5, v150, v1
	v_fma_f32 v4, v150, v0, -v4
	v_fmac_f32_e32 v5, v151, v0
	ds_write2_b64 v23, v[6:7], v[4:5] offset0:88 offset1:208
	global_load_dwordx2 v[4:5], v[178:179], off offset:3520
	s_waitcnt vmcnt(0)
	v_mul_f32_e32 v0, v157, v5
	v_mul_f32_e32 v1, v156, v5
	v_fma_f32 v0, v156, v4, -v0
	v_fmac_f32_e32 v1, v157, v4
	global_load_dwordx2 v[4:5], v[154:155], off offset:2304
	s_waitcnt vmcnt(0)
	v_mul_f32_e32 v6, v129, v5
	v_mul_f32_e32 v7, v128, v5
	v_fma_f32 v6, v128, v4, -v6
	v_fmac_f32_e32 v7, v129, v4
	v_add_u32_e32 v4, 0x6400, v246
	ds_write2_b64 v4, v[182:183], v[6:7] offset0:40 offset1:160
	global_load_dwordx2 v[4:5], v246, s[16:17] offset:1920
	s_mov_b32 s16, s2
	s_mov_b32 s17, s4
	s_waitcnt vmcnt(0)
	v_mul_f32_e32 v6, v133, v5
	v_mul_f32_e32 v7, v132, v5
	v_fma_f32 v6, v132, v4, -v6
	v_fmac_f32_e32 v7, v133, v4
	global_load_dwordx2 v[4:5], v[162:163], off offset:704
	ds_write2_b64 v246, v[180:181], v[6:7] offset0:120 offset1:240
	s_waitcnt vmcnt(0)
	v_mul_f32_e32 v6, v161, v5
	v_mul_f32_e32 v7, v160, v5
	v_fma_f32 v6, v160, v4, -v6
	v_fmac_f32_e32 v7, v161, v4
	v_add_u32_e32 v4, 0x1000, v246
	ds_write2_b64 v4, v[6:7], v[170:171] offset0:88 offset1:208
	global_load_dwordx2 v[4:5], v[162:163], off offset:3584
	s_waitcnt vmcnt(0)
	v_mul_f32_e32 v6, v135, v5
	v_mul_f32_e32 v7, v134, v5
	v_fma_f32 v6, v134, v4, -v6
	v_fmac_f32_e32 v7, v135, v4
	v_accvgpr_read_b32 v4, a89
	ds_write2_b64 v4, v[158:159], v[6:7] offset0:72 offset1:192
	global_load_dwordx2 v[4:5], v[164:165], off offset:2368
	v_accvgpr_write_b32 a89, v27
	s_waitcnt vmcnt(0)
	v_mul_f32_e32 v6, v145, v5
	v_mul_f32_e32 v7, v144, v5
	v_fma_f32 v6, v144, v4, -v6
	v_fmac_f32_e32 v7, v145, v4
	v_add_u32_e32 v4, 0x2800, v246
	ds_write2_b64 v4, v[6:7], v[172:173] offset0:40 offset1:160
	v_accvgpr_write_b32 a95, v4
	global_load_dwordx2 v[4:5], v[166:167], off offset:1152
	s_waitcnt vmcnt(0)
	v_mul_f32_e32 v6, v137, v5
	v_mul_f32_e32 v7, v136, v5
	v_fma_f32 v6, v136, v4, -v6
	v_fmac_f32_e32 v7, v137, v4
	v_accvgpr_read_b32 v4, a97
	ds_write2_b64 v4, v[8:9], v[6:7] offset0:24 offset1:144
	global_load_dwordx2 v[4:5], v[166:167], off offset:4032
	s_waitcnt vmcnt(0)
	v_mul_f32_e32 v6, v149, v5
	v_mul_f32_e32 v7, v148, v5
	v_fma_f32 v6, v148, v4, -v6
	v_fmac_f32_e32 v7, v149, v4
	global_load_dwordx2 v[4:5], v[168:169], off offset:2816
	ds_write2_b64 v27, v[6:7], v[174:175] offset0:120 offset1:240
	s_waitcnt vmcnt(0)
	v_mul_f32_e32 v6, v139, v5
	v_mul_f32_e32 v7, v138, v5
	v_fma_f32 v6, v138, v4, -v6
	v_fmac_f32_e32 v7, v139, v4
	v_accvgpr_read_b32 v4, a99
	ds_write2_b64 v4, v[2:3], v[6:7] offset0:104 offset1:224
	global_load_dwordx2 v[2:3], v[178:179], off offset:1600
	s_waitcnt vmcnt(0)
	v_mul_f32_e32 v4, v153, v3
	v_mul_f32_e32 v5, v152, v3
	v_fma_f32 v4, v152, v2, -v4
	v_fmac_f32_e32 v5, v153, v2
	v_add_u32_e32 v2, 0x5400, v246
	ds_write2_b64 v2, v[4:5], v[176:177] offset0:72 offset1:192
	global_load_dwordx2 v[2:3], v[154:155], off offset:384
	s_waitcnt vmcnt(0)
	v_mul_f32_e32 v4, v141, v3
	v_mul_f32_e32 v5, v140, v3
	v_fma_f32 v4, v140, v2, -v4
	v_fmac_f32_e32 v5, v141, v2
	v_accvgpr_read_b32 v2, a101
	ds_write2_b64 v2, v[0:1], v[4:5] offset0:56 offset1:176
	global_load_dwordx2 v[0:1], v[154:155], off offset:3264
	s_waitcnt vmcnt(0)
	v_mul_f32_e32 v2, v131, v1
	v_mul_f32_e32 v3, v130, v1
	v_fma_f32 v2, v130, v0, -v2
	v_fmac_f32_e32 v3, v131, v0
	ds_write_b64 v246, v[2:3] offset:27840
	s_waitcnt lgkmcnt(0)
	s_barrier
	ds_read2_b64 v[204:207], v246 offset1:120
	ds_read2_b64 v[128:131], v227 offset0:96 offset1:216
	ds_read2_b64 v[188:191], v254 offset0:80 offset1:200
	;; [unrolled: 1-line block ×9, first 2 shown]
	s_waitcnt lgkmcnt(4)
	v_mov_b32_e32 v2, v136
	v_mov_b32_e32 v6, v132
	s_waitcnt lgkmcnt(2)
	v_mov_b32_e32 v3, v140
	s_waitcnt lgkmcnt(0)
	v_mov_b32_e32 v7, v144
	v_pk_add_f32 v[4:5], v[132:133], v[144:145]
	v_pk_add_f32 v[2:3], v[2:3], v[6:7] neg_lo:[0,1] neg_hi:[0,1]
	v_fma_f32 v15, -0.5, v4, v128
	v_mov_b32_e32 v4, v3
	v_pk_add_f32 v[6:7], v[2:3], v[4:5]
	v_fma_f32 v19, -0.5, v5, v129
	v_mov_b32_e32 v4, v137
	v_mov_b32_e32 v5, v141
	;; [unrolled: 1-line block ×4, first 2 shown]
	v_pk_add_f32 v[4:5], v[4:5], v[8:9] neg_lo:[0,1] neg_hi:[0,1]
	v_pk_add_f32 v[152:153], v[190:191], v[202:203] neg_lo:[0,1] neg_hi:[0,1]
	v_mov_b32_e32 v8, v5
	v_pk_add_f32 v[4:5], v[4:5], v[8:9]
	v_pk_add_f32 v[8:9], v[194:195], v[198:199]
	v_pk_mul_f32 v[150:151], v[152:153], s[4:5] op_sel_hi:[1,0]
	v_pk_fma_f32 v[8:9], v[8:9], 0.5, v[206:207] op_sel_hi:[1,0,1] neg_lo:[1,0,0] neg_hi:[1,0,0]
	v_pk_add_f32 v[154:155], v[194:195], v[198:199] neg_lo:[0,1] neg_hi:[0,1]
	v_pk_add_f32 v[158:159], v[190:191], v[194:195] neg_lo:[0,1] neg_hi:[0,1]
	;; [unrolled: 1-line block ×3, first 2 shown]
	v_pk_mul_f32 v[156:157], v[154:155], s[8:9] op_sel_hi:[1,0]
	v_pk_add_f32 v[158:159], v[158:159], v[160:161]
	v_pk_add_f32 v[160:161], v[8:9], v[150:151] op_sel:[0,1] op_sel_hi:[1,0] neg_lo:[0,1] neg_hi:[0,1]
	v_pk_add_f32 v[8:9], v[8:9], v[150:151] op_sel:[0,1] op_sel_hi:[1,0]
	v_pk_add_f32 v[2:3], v[128:129], v[132:133]
	v_pk_add_f32 v[8:9], v[8:9], v[156:157] op_sel:[0,1] op_sel_hi:[1,0]
	v_pk_add_f32 v[156:157], v[160:161], v[156:157] op_sel:[0,1] op_sel_hi:[1,0] neg_lo:[0,1] neg_hi:[0,1]
	v_mov_b32_e32 v151, v9
	v_mov_b32_e32 v150, v156
	v_pk_fma_f32 v[160:161], v[158:159], s[2:3], v[150:151] op_sel_hi:[1,0,1]
	v_pk_add_f32 v[150:151], v[136:137], v[140:141]
	v_pk_add_f32 v[166:167], v[136:137], v[140:141] neg_lo:[0,1] neg_hi:[0,1]
	v_pk_fma_f32 v[128:129], v[150:151], 0.5, v[128:129] op_sel_hi:[1,0,1] neg_lo:[1,0,0] neg_hi:[1,0,0]
	v_pk_add_f32 v[150:151], v[132:133], v[144:145] neg_lo:[0,1] neg_hi:[0,1]
	v_pk_add_f32 v[2:3], v[2:3], v[136:137]
	v_pk_mul_f32 v[162:163], v[150:151], s[4:5] op_sel_hi:[1,0]
	v_pk_mul_f32 v[168:169], v[166:167], s[8:9] op_sel_hi:[1,0]
	v_pk_add_f32 v[164:165], v[128:129], v[162:163] op_sel:[0,1] op_sel_hi:[1,0]
	v_pk_add_f32 v[132:133], v[132:133], v[136:137] neg_lo:[0,1] neg_hi:[0,1]
	v_pk_add_f32 v[136:137], v[144:145], v[140:141] neg_lo:[0,1] neg_hi:[0,1]
	v_pk_add_f32 v[164:165], v[168:169], v[164:165] op_sel:[1,0] op_sel_hi:[0,1]
	v_pk_add_f32 v[132:133], v[132:133], v[136:137]
	v_mov_b32_e32 v7, v151
	v_pk_fma_f32 v[136:137], v[132:133], s[2:3], v[164:165] op_sel_hi:[1,0,1]
	s_mov_b32 s3, s8
	v_pk_add_f32 v[128:129], v[128:129], v[162:163] op_sel:[0,1] op_sel_hi:[1,0] neg_lo:[0,1] neg_hi:[0,1]
	v_fmamk_f32 v5, v167, 0x3f737871, v15
	v_pk_mul_f32 v[6:7], v[6:7], s[2:3]
	v_pk_add_f32 v[128:129], v[128:129], v[168:169] op_sel:[0,1] op_sel_hi:[1,0] neg_lo:[0,1] neg_hi:[0,1]
	v_pk_add_f32 v[2:3], v[2:3], v[140:141]
	v_sub_f32_e32 v5, v5, v7
	v_fmac_f32_e32 v15, 0xbf737871, v167
	v_mov_b32_e32 v164, v128
	v_pk_add_f32 v[2:3], v[2:3], v[144:145]
	v_add_f32_e32 v140, v6, v5
	v_add_f32_e32 v5, v7, v15
	v_pk_fma_f32 v[144:145], v[132:133], s[2:3], v[164:165] op_sel_hi:[1,0,1]
	v_add_f32_e32 v6, v6, v5
	v_mov_b32_e32 v5, v150
	v_pk_mul_f32 v[150:151], v[144:145], s[8:9] op_sel_hi:[1,0]
	v_fmamk_f32 v7, v166, 0xbf737871, v19
	v_pk_fma_f32 v[162:163], v[144:145], s[10:11], v[150:151] op_sel:[0,0,1] op_sel_hi:[1,0,0] neg_lo:[0,0,1] neg_hi:[0,0,1]
	v_pk_fma_f32 v[144:145], v[144:145], s[10:11], v[150:151] op_sel:[0,0,1] op_sel_hi:[1,0,0]
	v_pk_mul_f32 v[4:5], v[4:5], s[2:3]
	v_mov_b32_e32 v163, v145
	v_pk_add_f32 v[144:145], v[190:191], v[202:203]
	v_add_f32_e32 v7, v5, v7
	v_fmac_f32_e32 v19, 0x3f737871, v166
	v_pk_fma_f32 v[144:145], v[144:145], 0.5, v[206:207] op_sel_hi:[1,0,1] neg_lo:[1,0,0] neg_hi:[1,0,0]
	v_pk_add_f32 v[164:165], v[194:195], v[190:191] neg_lo:[0,1] neg_hi:[0,1]
	v_pk_add_f32 v[166:167], v[198:199], v[202:203] neg_lo:[0,1] neg_hi:[0,1]
	v_pk_mul_f32 v[154:155], v[154:155], s[4:5] op_sel_hi:[1,0]
	v_pk_fma_f32 v[128:129], v[132:133], s[2:3], v[128:129] op_sel_hi:[1,0,1]
	v_add_f32_e32 v132, v4, v7
	v_pk_add_f32 v[164:165], v[164:165], v[166:167]
	v_pk_mul_f32 v[152:153], v[152:153], s[8:9] op_sel_hi:[1,0]
	v_pk_add_f32 v[166:167], v[144:145], v[154:155] op_sel:[0,1] op_sel_hi:[1,0]
	v_pk_add_f32 v[144:145], v[144:145], v[154:155] op_sel:[0,1] op_sel_hi:[1,0] neg_lo:[0,1] neg_hi:[0,1]
	s_mov_b32 s5, s2
	v_sub_f32_e32 v5, v19, v5
	v_pk_add_f32 v[144:145], v[144:145], v[152:153] op_sel:[0,1] op_sel_hi:[1,0]
	v_pk_add_f32 v[152:153], v[166:167], v[152:153] op_sel:[0,1] op_sel_hi:[1,0] neg_lo:[0,1] neg_hi:[0,1]
	v_pk_mul_f32 v[132:133], v[132:133], s[4:5] op_sel_hi:[0,1]
	v_add_f32_e32 v4, v4, v5
	v_mov_b32_e32 v154, v152
	v_mov_b32_e32 v155, v145
	v_pk_fma_f32 v[166:167], v[140:141], s[16:17], v[132:133] neg_lo:[0,0,1] neg_hi:[0,0,1]
	v_pk_fma_f32 v[132:133], v[140:141], s[16:17], v[132:133] op_sel_hi:[0,1,1]
	v_pk_add_f32 v[0:1], v[206:207], v[190:191]
	v_pk_fma_f32 v[154:155], v[164:165], s[2:3], v[154:155] op_sel_hi:[1,0,1]
	v_mov_b32_e32 v167, v133
	v_pk_mul_f32 v[4:5], v[4:5], s[4:5] op_sel_hi:[0,1]
	v_mov_b32_e32 v145, v153
	v_pk_add_f32 v[0:1], v[0:1], v[194:195]
	v_pk_add_f32 v[150:151], v[160:161], v[162:163]
	v_pk_add_f32 v[172:173], v[154:155], v[166:167]
	v_pk_fma_f32 v[4:5], v[6:7], s[18:19], v[4:5] op_sel_hi:[0,1,1] neg_lo:[0,0,1] neg_hi:[0,0,1]
	v_pk_fma_f32 v[6:7], v[164:165], s[2:3], v[144:145] op_sel_hi:[1,0,1]
	v_mov_b32_e32 v9, v157
	v_pk_add_f32 v[180:181], v[160:161], v[162:163] neg_lo:[0,1] neg_hi:[0,1]
	v_pk_add_f32 v[182:183], v[154:155], v[166:167] neg_lo:[0,1] neg_hi:[0,1]
	ds_read2_b64 v[168:171], v226 offset0:112 offset1:232
	ds_read2_b64 v[160:163], v255 offset0:64 offset1:184
	;; [unrolled: 1-line block ×4, first 2 shown]
	v_pk_add_f32 v[0:1], v[0:1], v[198:199]
	v_pk_fma_f32 v[8:9], v[158:159], s[2:3], v[8:9] op_sel_hi:[1,0,1]
	ds_read2_b64 v[156:159], v253 offset0:48 offset1:168
	v_pk_add_f32 v[0:1], v[0:1], v[202:203]
	v_pk_add_f32 v[174:175], v[6:7], v[4:5]
	;; [unrolled: 1-line block ×3, first 2 shown]
	v_pk_add_f32 v[186:187], v[0:1], v[2:3] neg_lo:[0,1] neg_hi:[0,1]
	s_waitcnt lgkmcnt(3)
	v_pk_add_f32 v[0:1], v[168:169], v[160:161]
	v_pk_add_f32 v[176:177], v[6:7], v[4:5] neg_lo:[0,1] neg_hi:[0,1]
	s_waitcnt lgkmcnt(2)
	v_pk_add_f32 v[0:1], v[0:1], v[164:165]
	v_mov_b32_e32 v2, v138
	s_waitcnt lgkmcnt(1)
	v_pk_add_f32 v[0:1], v[0:1], v[152:153]
	v_mov_b32_e32 v3, v142
	v_mov_b32_e32 v4, v134
	;; [unrolled: 1-line block ×3, first 2 shown]
	s_waitcnt lgkmcnt(0)
	v_pk_add_f32 v[132:133], v[0:1], v[156:157]
	v_pk_add_f32 v[0:1], v[134:135], v[146:147]
	v_pk_add_f32 v[2:3], v[2:3], v[4:5] neg_lo:[0,1] neg_hi:[0,1]
	v_fma_f32 v19, -0.5, v0, v130
	v_mov_b32_e32 v0, v3
	v_pk_add_f32 v[144:145], v[2:3], v[0:1]
	v_pk_add_f32 v[2:3], v[130:131], v[134:135]
	v_pk_mul_f32 v[128:129], v[128:129], s[8:9] op_sel:[1,0]
	v_pk_add_f32 v[2:3], v[2:3], v[138:139]
	v_pk_fma_f32 v[128:129], v[136:137], s[20:21], v[128:129] op_sel_hi:[0,1,1] neg_lo:[0,0,1] neg_hi:[0,0,1]
	v_pk_add_f32 v[2:3], v[2:3], v[142:143]
	v_fma_f32 v15, -0.5, v1, v131
	v_pk_add_f32 v[136:137], v[2:3], v[146:147]
	v_mov_b32_e32 v0, v139
	v_mov_b32_e32 v1, v143
	v_mov_b32_e32 v2, v135
	v_mov_b32_e32 v3, v147
	v_pk_add_f32 v[0:1], v[0:1], v[2:3] neg_lo:[0,1] neg_hi:[0,1]
	v_mov_b32_e32 v4, v162
	v_mov_b32_e32 v2, v1
	v_pk_add_f32 v[140:141], v[0:1], v[2:3]
	v_pk_add_f32 v[0:1], v[204:205], v[188:189]
	v_mov_b32_e32 v5, v158
	v_pk_add_f32 v[0:1], v[0:1], v[192:193]
	v_pk_add_f32 v[2:3], v[162:163], v[158:159]
	;; [unrolled: 1-line block ×3, first 2 shown]
	v_fma_f32 v27, -0.5, v2, v170
	v_pk_add_f32 v[190:191], v[0:1], v[200:201]
	v_mov_b32_e32 v0, v166
	v_mov_b32_e32 v1, v154
	v_pk_add_f32 v[0:1], v[0:1], v[4:5] neg_lo:[0,1] neg_hi:[0,1]
	v_pk_add_f32 v[4:5], v[170:171], v[162:163]
	v_mov_b32_e32 v2, v1
	v_pk_add_f32 v[4:5], v[4:5], v[166:167]
	v_pk_add_f32 v[0:1], v[0:1], v[2:3]
	;; [unrolled: 1-line block ×3, first 2 shown]
	v_fma_f32 v23, -0.5, v3, v171
	v_pk_add_f32 v[194:195], v[4:5], v[158:159]
	v_mov_b32_e32 v2, v167
	v_mov_b32_e32 v3, v155
	;; [unrolled: 1-line block ×4, first 2 shown]
	v_pk_add_f32 v[2:3], v[2:3], v[4:5] neg_lo:[0,1] neg_hi:[0,1]
	v_pk_add_f32 v[198:199], v[188:189], v[200:201] neg_lo:[0,1] neg_hi:[0,1]
	v_mov_b32_e32 v4, v3
	v_pk_add_f32 v[208:209], v[2:3], v[4:5]
	v_pk_add_f32 v[2:3], v[192:193], v[196:197]
	;; [unrolled: 1-line block ×3, first 2 shown]
	v_pk_add_f32 v[178:179], v[8:9], v[128:129] neg_lo:[0,1] neg_hi:[0,1]
	v_pk_fma_f32 v[4:5], v[2:3], 0.5, v[204:205] op_sel_hi:[1,0,1] neg_lo:[1,0,0] neg_hi:[1,0,0]
	v_pk_mul_f32 v[2:3], v[198:199], s[4:5] op_sel_hi:[1,0]
	v_pk_add_f32 v[202:203], v[192:193], v[196:197] neg_lo:[0,1] neg_hi:[0,1]
	v_pk_add_f32 v[8:9], v[188:189], v[192:193] neg_lo:[0,1] neg_hi:[0,1]
	v_pk_add_f32 v[254:255], v[200:201], v[196:197] neg_lo:[0,1] neg_hi:[0,1]
	v_pk_mul_f32 v[6:7], v[202:203], s[8:9] op_sel_hi:[1,0]
	v_pk_add_f32 v[8:9], v[8:9], v[254:255]
	v_pk_add_f32 v[254:255], v[4:5], v[2:3] op_sel:[0,1] op_sel_hi:[1,0] neg_lo:[0,1] neg_hi:[0,1]
	v_pk_add_f32 v[2:3], v[4:5], v[2:3] op_sel:[0,1] op_sel_hi:[1,0]
	v_pk_add_f32 v[250:251], v[166:167], v[154:155] neg_lo:[0,1] neg_hi:[0,1]
	v_pk_add_f32 v[4:5], v[2:3], v[6:7] op_sel:[0,1] op_sel_hi:[1,0]
	v_pk_add_f32 v[6:7], v[254:255], v[6:7] op_sel:[0,1] op_sel_hi:[1,0] neg_lo:[0,1] neg_hi:[0,1]
	v_pk_add_f32 v[254:255], v[166:167], v[154:155]
	v_pk_add_f32 v[154:155], v[158:159], v[154:155] neg_lo:[0,1] neg_hi:[0,1]
	v_pk_fma_f32 v[170:171], v[254:255], 0.5, v[170:171] op_sel_hi:[1,0,1] neg_lo:[1,0,0] neg_hi:[1,0,0]
	v_pk_add_f32 v[254:255], v[162:163], v[158:159] neg_lo:[0,1] neg_hi:[0,1]
	v_pk_add_f32 v[162:163], v[162:163], v[166:167] neg_lo:[0,1] neg_hi:[0,1]
	v_pk_mul_f32 v[226:227], v[254:255], s[4:5] op_sel_hi:[1,0]
	v_pk_mul_f32 v[248:249], v[250:251], s[8:9] op_sel_hi:[1,0]
	v_pk_add_f32 v[252:253], v[170:171], v[226:227] op_sel:[0,1] op_sel_hi:[1,0]
	v_pk_add_f32 v[158:159], v[162:163], v[154:155]
	v_mov_b32_e32 v1, v255
	v_pk_add_f32 v[162:163], v[170:171], v[226:227] op_sel:[0,1] op_sel_hi:[1,0] neg_lo:[0,1] neg_hi:[0,1]
	v_mov_b32_e32 v3, v5
	v_pk_add_f32 v[252:253], v[248:249], v[252:253] op_sel:[1,0] op_sel_hi:[0,1]
	v_fmamk_f32 v5, v251, 0x3f737871, v27
	v_pk_mul_f32 v[0:1], v[0:1], s[2:3]
	v_fmac_f32_e32 v27, 0xbf737871, v251
	v_pk_add_f32 v[162:163], v[162:163], v[248:249] op_sel:[0,1] op_sel_hi:[1,0] neg_lo:[0,1] neg_hi:[0,1]
	v_pk_fma_f32 v[154:155], v[158:159], s[2:3], v[252:253] op_sel_hi:[1,0,1]
	v_sub_f32_e32 v5, v5, v1
	v_add_f32_e32 v1, v1, v27
	v_mov_b32_e32 v252, v162
	v_mov_b32_e32 v209, v254
	;; [unrolled: 1-line block ×3, first 2 shown]
	v_add_f32_e32 v6, v0, v5
	v_add_f32_e32 v0, v0, v1
	v_pk_fma_f32 v[166:167], v[158:159], s[2:3], v[252:253] op_sel_hi:[1,0,1]
	v_pk_fma_f32 v[158:159], v[158:159], s[2:3], v[162:163] op_sel_hi:[1,0,1]
	v_fmamk_f32 v1, v250, 0xbf737871, v23
	v_pk_mul_f32 v[162:163], v[208:209], s[2:3]
	v_fmac_f32_e32 v23, 0x3f737871, v250
	v_add_f32_e32 v1, v163, v1
	v_add_f32_e32 v170, v162, v1
	v_sub_f32_e32 v1, v23, v163
	v_pk_mul_f32 v[208:209], v[166:167], s[8:9] op_sel_hi:[1,0]
	v_add_f32_e32 v226, v162, v1
	v_pk_fma_f32 v[162:163], v[166:167], s[10:11], v[208:209] op_sel:[0,0,1] op_sel_hi:[1,0,0] neg_lo:[0,0,1] neg_hi:[0,0,1]
	v_pk_fma_f32 v[166:167], v[166:167], s[10:11], v[208:209] op_sel:[0,0,1] op_sel_hi:[1,0,0]
	v_pk_mul_f32 v[170:171], v[170:171], s[4:5] op_sel_hi:[0,1]
	v_mov_b32_e32 v163, v167
	v_pk_add_f32 v[166:167], v[188:189], v[200:201]
	v_pk_add_f32 v[188:189], v[192:193], v[188:189] neg_lo:[0,1] neg_hi:[0,1]
	v_pk_add_f32 v[192:193], v[196:197], v[200:201] neg_lo:[0,1] neg_hi:[0,1]
	v_pk_fma_f32 v[166:167], v[166:167], 0.5, v[204:205] op_sel_hi:[1,0,1] neg_lo:[1,0,0] neg_hi:[1,0,0]
	v_pk_add_f32 v[188:189], v[188:189], v[192:193]
	v_pk_mul_f32 v[192:193], v[202:203], s[4:5] op_sel_hi:[1,0]
	v_pk_mul_f32 v[196:197], v[198:199], s[8:9] op_sel_hi:[1,0]
	v_pk_add_f32 v[198:199], v[166:167], v[192:193] op_sel:[0,1] op_sel_hi:[1,0]
	v_pk_add_f32 v[166:167], v[166:167], v[192:193] op_sel:[0,1] op_sel_hi:[1,0] neg_lo:[0,1] neg_hi:[0,1]
	v_pk_add_f32 v[192:193], v[198:199], v[196:197] op_sel:[0,1] op_sel_hi:[1,0] neg_lo:[0,1] neg_hi:[0,1]
	v_pk_add_f32 v[166:167], v[166:167], v[196:197] op_sel:[0,1] op_sel_hi:[1,0]
	v_pk_fma_f32 v[202:203], v[6:7], s[16:17], v[170:171] neg_lo:[0,0,1] neg_hi:[0,0,1]
	v_pk_fma_f32 v[170:171], v[6:7], s[16:17], v[170:171] op_sel_hi:[0,1,1]
	v_mov_b32_e32 v196, v192
	v_mov_b32_e32 v197, v167
	;; [unrolled: 1-line block ×3, first 2 shown]
	v_pk_mul_f32 v[170:171], v[226:227], s[4:5] op_sel_hi:[0,1]
	v_pk_fma_f32 v[2:3], v[8:9], s[2:3], v[2:3] op_sel_hi:[1,0,1]
	v_pk_fma_f32 v[200:201], v[188:189], s[2:3], v[196:197] op_sel_hi:[1,0,1]
	v_pk_fma_f32 v[170:171], v[0:1], s[18:19], v[170:171] op_sel_hi:[0,1,1] neg_lo:[0,0,1] neg_hi:[0,0,1]
	v_mov_b32_e32 v167, v193
	v_mov_b32_e32 v5, v7
	v_pk_mul_f32 v[0:1], v[158:159], s[8:9] op_sel:[1,0]
	v_pk_add_f32 v[208:209], v[2:3], v[162:163]
	v_pk_fma_f32 v[166:167], v[188:189], s[2:3], v[166:167] op_sel_hi:[1,0,1]
	v_pk_fma_f32 v[8:9], v[8:9], s[2:3], v[4:5] op_sel_hi:[1,0,1]
	v_pk_fma_f32 v[154:155], v[154:155], s[20:21], v[0:1] op_sel_hi:[0,1,1] neg_lo:[0,0,1] neg_hi:[0,0,1]
	v_pk_add_f32 v[0:1], v[2:3], v[162:163] neg_lo:[0,1] neg_hi:[0,1]
	v_pk_add_f32 v[2:3], v[200:201], v[202:203] neg_lo:[0,1] neg_hi:[0,1]
	v_pk_add_f32 v[206:207], v[190:191], v[194:195]
	s_barrier
	v_pk_add_f32 v[196:197], v[200:201], v[202:203]
	v_pk_add_f32 v[198:199], v[166:167], v[170:171]
	;; [unrolled: 1-line block ×3, first 2 shown]
	v_pk_add_f32 v[6:7], v[190:191], v[194:195] neg_lo:[0,1] neg_hi:[0,1]
	ds_write_b128 v95, v[0:3] offset:48
	v_pk_add_f32 v[0:1], v[166:167], v[170:171] neg_lo:[0,1] neg_hi:[0,1]
	v_pk_add_f32 v[2:3], v[8:9], v[154:155] neg_lo:[0,1] neg_hi:[0,1]
	ds_write_b128 v95, v[206:209]
	ds_write_b128 v95, v[196:199] offset:16
	ds_write_b128 v95, v[4:7] offset:32
	;; [unrolled: 1-line block ×3, first 2 shown]
	ds_write_b128 v229, v[148:151]
	ds_write_b128 v229, v[172:175] offset:16
	ds_write_b128 v229, v[184:187] offset:32
	ds_write_b128 v229, v[180:183] offset:48
	ds_write_b128 v229, v[176:179] offset:64
	v_pk_add_f32 v[0:1], v[164:165], v[152:153]
	v_pk_add_f32 v[154:155], v[160:161], v[156:157] neg_lo:[0,1] neg_hi:[0,1]
	v_pk_fma_f32 v[0:1], v[0:1], 0.5, v[168:169] op_sel_hi:[1,0,1] neg_lo:[1,0,0] neg_hi:[1,0,0]
	v_pk_mul_f32 v[4:5], v[154:155], s[4:5] op_sel_hi:[1,0]
	v_pk_add_f32 v[158:159], v[164:165], v[152:153] neg_lo:[0,1] neg_hi:[0,1]
	v_pk_add_f32 v[2:3], v[160:161], v[164:165] neg_lo:[0,1] neg_hi:[0,1]
	;; [unrolled: 1-line block ×3, first 2 shown]
	v_pk_mul_f32 v[6:7], v[158:159], s[8:9] op_sel_hi:[1,0]
	v_pk_add_f32 v[2:3], v[2:3], v[8:9]
	v_pk_add_f32 v[8:9], v[0:1], v[4:5] op_sel:[0,1] op_sel_hi:[1,0] neg_lo:[0,1] neg_hi:[0,1]
	v_pk_add_f32 v[0:1], v[0:1], v[4:5] op_sel:[0,1] op_sel_hi:[1,0]
	v_pk_add_f32 v[150:151], v[8:9], v[6:7] op_sel:[0,1] op_sel_hi:[1,0] neg_lo:[0,1] neg_hi:[0,1]
	v_pk_add_f32 v[4:5], v[138:139], v[142:143]
	v_pk_add_f32 v[8:9], v[134:135], v[146:147] neg_lo:[0,1] neg_hi:[0,1]
	v_pk_fma_f32 v[4:5], v[4:5], 0.5, v[130:131] op_sel_hi:[1,0,1] neg_lo:[1,0,0] neg_hi:[1,0,0]
	v_pk_mul_f32 v[130:131], v[8:9], s[4:5] op_sel_hi:[1,0]
	v_pk_add_f32 v[162:163], v[138:139], v[142:143] neg_lo:[0,1] neg_hi:[0,1]
	v_pk_add_f32 v[148:149], v[0:1], v[6:7] op_sel:[0,1] op_sel_hi:[1,0]
	v_pk_add_f32 v[6:7], v[4:5], v[130:131] op_sel:[0,1] op_sel_hi:[1,0]
	v_pk_mul_f32 v[166:167], v[162:163], s[8:9] op_sel_hi:[1,0]
	v_pk_add_f32 v[4:5], v[4:5], v[130:131] op_sel:[0,1] op_sel_hi:[1,0] neg_lo:[0,1] neg_hi:[0,1]
	v_pk_add_f32 v[170:171], v[166:167], v[6:7] op_sel:[1,0] op_sel_hi:[0,1]
	v_pk_add_f32 v[6:7], v[134:135], v[138:139] neg_lo:[0,1] neg_hi:[0,1]
	v_pk_add_f32 v[134:135], v[146:147], v[142:143] neg_lo:[0,1] neg_hi:[0,1]
	v_pk_add_f32 v[4:5], v[4:5], v[166:167] op_sel:[0,1] op_sel_hi:[1,0] neg_lo:[0,1] neg_hi:[0,1]
	v_pk_add_f32 v[138:139], v[6:7], v[134:135]
	v_mov_b32_e32 v145, v9
	v_pk_fma_f32 v[134:135], v[138:139], s[2:3], v[170:171] op_sel_hi:[1,0,1]
	v_mov_b32_e32 v170, v4
	v_fmamk_f32 v23, v163, 0x3f737871, v19
	v_pk_mul_f32 v[6:7], v[144:145], s[2:3]
	v_fmac_f32_e32 v19, 0xbf737871, v163
	v_pk_fma_f32 v[130:131], v[138:139], s[2:3], v[170:171] op_sel_hi:[1,0,1]
	v_sub_f32_e32 v9, v23, v7
	v_add_f32_e32 v7, v7, v19
	v_mov_b32_e32 v141, v8
	v_pk_mul_f32 v[144:145], v[130:131], s[8:9] op_sel_hi:[1,0]
	v_mov_b32_e32 v0, v150
	v_mov_b32_e32 v1, v149
	v_add_f32_e32 v142, v6, v9
	v_add_f32_e32 v6, v6, v7
	v_pk_fma_f32 v[4:5], v[138:139], s[2:3], v[4:5] op_sel_hi:[1,0,1]
	v_fmamk_f32 v7, v162, 0xbf737871, v15
	v_pk_mul_f32 v[8:9], v[140:141], s[2:3]
	v_pk_fma_f32 v[138:139], v[130:131], s[10:11], v[144:145] op_sel:[0,0,1] op_sel_hi:[1,0,0] neg_lo:[0,0,1] neg_hi:[0,0,1]
	v_pk_fma_f32 v[130:131], v[130:131], s[10:11], v[144:145] op_sel:[0,0,1] op_sel_hi:[1,0,0]
	v_pk_fma_f32 v[0:1], v[2:3], s[2:3], v[0:1] op_sel_hi:[1,0,1]
	v_add_f32_e32 v7, v9, v7
	v_fmac_f32_e32 v15, 0x3f737871, v162
	v_mov_b32_e32 v139, v131
	v_pk_add_f32 v[128:129], v[132:133], v[136:137]
	v_add_f32_e32 v140, v8, v7
	v_sub_f32_e32 v7, v15, v9
	v_pk_add_f32 v[130:131], v[0:1], v[138:139]
	v_accvgpr_read_b32 v15, a85
	ds_write_b128 v15, v[128:131]
	v_pk_add_f32 v[128:129], v[160:161], v[156:157]
	v_pk_add_f32 v[130:131], v[164:165], v[160:161] neg_lo:[0,1] neg_hi:[0,1]
	v_pk_add_f32 v[144:145], v[152:153], v[156:157] neg_lo:[0,1] neg_hi:[0,1]
	v_pk_fma_f32 v[128:129], v[128:129], 0.5, v[168:169] op_sel_hi:[1,0,1] neg_lo:[1,0,0] neg_hi:[1,0,0]
	v_pk_add_f32 v[130:131], v[130:131], v[144:145]
	v_pk_mul_f32 v[144:145], v[158:159], s[4:5] op_sel_hi:[1,0]
	v_pk_mul_f32 v[146:147], v[154:155], s[8:9] op_sel_hi:[1,0]
	v_pk_add_f32 v[152:153], v[128:129], v[144:145] op_sel:[0,1] op_sel_hi:[1,0]
	v_pk_add_f32 v[128:129], v[128:129], v[144:145] op_sel:[0,1] op_sel_hi:[1,0] neg_lo:[0,1] neg_hi:[0,1]
	v_add_f32_e32 v8, v8, v7
	v_pk_add_f32 v[144:145], v[128:129], v[146:147] op_sel:[0,1] op_sel_hi:[1,0]
	v_pk_add_f32 v[146:147], v[152:153], v[146:147] op_sel:[0,1] op_sel_hi:[1,0] neg_lo:[0,1] neg_hi:[0,1]
	v_mov_b32_e32 v129, v145
	v_mov_b32_e32 v128, v146
	v_pk_fma_f32 v[152:153], v[130:131], s[2:3], v[128:129] op_sel_hi:[1,0,1]
	v_pk_mul_f32 v[128:129], v[140:141], s[4:5] op_sel_hi:[0,1]
	v_pk_fma_f32 v[140:141], v[142:143], s[16:17], v[128:129] neg_lo:[0,0,1] neg_hi:[0,0,1]
	v_pk_fma_f32 v[128:129], v[142:143], s[16:17], v[128:129] op_sel_hi:[0,1,1]
	v_pk_mul_f32 v[8:9], v[8:9], s[4:5] op_sel_hi:[0,1]
	v_mov_b32_e32 v145, v147
	v_mov_b32_e32 v141, v129
	v_pk_fma_f32 v[6:7], v[6:7], s[18:19], v[8:9] op_sel_hi:[0,1,1] neg_lo:[0,0,1] neg_hi:[0,0,1]
	v_pk_fma_f32 v[8:9], v[130:131], s[2:3], v[144:145] op_sel_hi:[1,0,1]
	v_pk_add_f32 v[128:129], v[152:153], v[140:141]
	v_pk_add_f32 v[130:131], v[8:9], v[6:7]
	v_mov_b32_e32 v149, v151
	ds_write_b128 v15, v[128:131] offset:16
	v_pk_fma_f32 v[128:129], v[2:3], s[2:3], v[148:149] op_sel_hi:[1,0,1]
	v_pk_mul_f32 v[2:3], v[4:5], s[8:9] op_sel:[1,0]
	v_pk_add_f32 v[4:5], v[132:133], v[136:137] neg_lo:[0,1] neg_hi:[0,1]
	v_pk_fma_f32 v[130:131], v[134:135], s[20:21], v[2:3] op_sel_hi:[0,1,1] neg_lo:[0,0,1] neg_hi:[0,0,1]
	v_pk_add_f32 v[2:3], v[128:129], v[130:131]
	ds_write_b128 v15, v[2:5] offset:32
	v_accvgpr_read_b32 v4, a85
	v_pk_add_f32 v[0:1], v[0:1], v[138:139] neg_lo:[0,1] neg_hi:[0,1]
	v_pk_add_f32 v[2:3], v[152:153], v[140:141] neg_lo:[0,1] neg_hi:[0,1]
	ds_write_b128 v4, v[0:3] offset:48
	v_pk_add_f32 v[0:1], v[8:9], v[6:7] neg_lo:[0,1] neg_hi:[0,1]
	v_pk_add_f32 v[2:3], v[128:129], v[130:131] neg_lo:[0,1] neg_hi:[0,1]
	ds_write_b128 v4, v[0:3] offset:64
	s_waitcnt lgkmcnt(0)
	s_barrier
	ds_read2_b64 v[128:131], v225 offset0:112 offset1:232
	ds_read2_b64 v[144:147], v39 offset0:64 offset1:184
	;; [unrolled: 1-line block ×5, first 2 shown]
	v_mov_b32_e32 v0, v127
	s_waitcnt lgkmcnt(3)
	v_pk_mul_f32 v[0:1], v[0:1], v[144:145] op_sel_hi:[0,1]
	v_pk_fma_f32 v[170:171], v[126:127], v[144:145], v[0:1] op_sel:[0,0,1] op_sel_hi:[1,1,0]
	v_pk_fma_f32 v[0:1], v[126:127], v[144:145], v[0:1] op_sel:[0,0,1] op_sel_hi:[0,1,0] neg_lo:[0,0,1] neg_hi:[0,0,1]
	v_mov_b32_e32 v0, v123
	v_mov_b32_e32 v171, v1
	s_waitcnt lgkmcnt(2)
	v_pk_mul_f32 v[0:1], v[0:1], v[140:141] op_sel_hi:[0,1]
	v_pk_fma_f32 v[144:145], v[122:123], v[140:141], v[0:1] op_sel:[0,0,1] op_sel_hi:[1,1,0]
	v_pk_fma_f32 v[0:1], v[122:123], v[140:141], v[0:1] op_sel:[0,0,1] op_sel_hi:[0,1,0] neg_lo:[0,0,1] neg_hi:[0,0,1]
	v_mov_b32_e32 v0, v119
	;; [unrolled: 6-line block ×3, first 2 shown]
	v_mov_b32_e32 v141, v1
	s_waitcnt lgkmcnt(0)
	v_pk_mul_f32 v[0:1], v[0:1], v[132:133] op_sel_hi:[0,1]
	ds_read2_b64 v[166:169], v243 offset0:96 offset1:216
	ds_read2_b64 v[162:165], v247 offset0:48 offset1:168
	;; [unrolled: 1-line block ×5, first 2 shown]
	v_pk_fma_f32 v[136:137], v[114:115], v[132:133], v[0:1] op_sel:[0,0,1] op_sel_hi:[1,1,0]
	v_pk_fma_f32 v[0:1], v[114:115], v[132:133], v[0:1] op_sel:[0,0,1] op_sel_hi:[0,1,0] neg_lo:[0,0,1] neg_hi:[0,0,1]
	v_mov_b32_e32 v137, v1
	v_pk_add_f32 v[0:1], v[144:145], v[140:141]
	v_pk_add_f32 v[132:133], v[170:171], v[136:137] neg_lo:[0,1] neg_hi:[0,1]
	v_pk_fma_f32 v[0:1], v[0:1], 0.5, v[128:129] op_sel_hi:[1,0,1] neg_lo:[1,0,0] neg_hi:[1,0,0]
	v_pk_add_f32 v[2:3], v[170:171], v[144:145] neg_lo:[0,1] neg_hi:[0,1]
	v_pk_add_f32 v[4:5], v[136:137], v[140:141] neg_lo:[0,1] neg_hi:[0,1]
	s_waitcnt lgkmcnt(2)
	v_pk_mul_f32 v[8:9], v[116:117], v[160:161] op_sel:[1,0]
	v_pk_add_f32 v[172:173], v[144:145], v[140:141] neg_lo:[0,1] neg_hi:[0,1]
	v_pk_add_f32 v[174:175], v[2:3], v[4:5]
	v_pk_fma_f32 v[2:3], v[132:133], s[4:5], v[0:1] op_sel:[1,0,0] op_sel_hi:[0,0,1]
	v_pk_fma_f32 v[0:1], v[132:133], s[4:5], v[0:1] op_sel:[1,0,0] op_sel_hi:[0,0,1] neg_lo:[1,0,0] neg_hi:[1,0,0]
	v_pk_fma_f32 v[114:115], v[116:117], v[160:161], v[8:9] op_sel:[0,0,1] op_sel_hi:[1,1,0]
	v_pk_fma_f32 v[8:9], v[116:117], v[160:161], v[8:9] op_sel:[0,0,1] op_sel_hi:[0,1,0] neg_lo:[0,0,1] neg_hi:[0,0,1]
	s_waitcnt lgkmcnt(1)
	v_pk_mul_f32 v[116:117], v[112:113], v[156:157] op_sel:[1,0]
	v_pk_fma_f32 v[176:177], v[172:173], s[8:9], v[0:1] op_sel:[1,0,0] op_sel_hi:[0,0,1] neg_lo:[1,0,0] neg_hi:[1,0,0]
	v_pk_fma_f32 v[178:179], v[172:173], s[8:9], v[2:3] op_sel:[1,0,0] op_sel_hi:[0,0,1]
	v_pk_mul_f32 v[4:5], v[120:121], v[164:165] op_sel:[1,0]
	v_pk_fma_f32 v[118:119], v[112:113], v[156:157], v[116:117] op_sel:[0,0,1] op_sel_hi:[1,1,0]
	v_pk_fma_f32 v[112:113], v[112:113], v[156:157], v[116:117] op_sel:[0,0,1] op_sel_hi:[0,1,0] neg_lo:[0,0,1] neg_hi:[0,0,1]
	s_waitcnt lgkmcnt(0)
	v_pk_mul_f32 v[116:117], v[210:211], v[150:151] op_sel:[1,0]
	v_mov_b32_e32 v0, v178
	v_mov_b32_e32 v1, v177
	v_pk_fma_f32 v[6:7], v[120:121], v[164:165], v[4:5] op_sel:[0,0,1] op_sel_hi:[1,1,0]
	v_pk_fma_f32 v[4:5], v[120:121], v[164:165], v[4:5] op_sel:[0,0,1] op_sel_hi:[0,1,0] neg_lo:[0,0,1] neg_hi:[0,0,1]
	v_pk_fma_f32 v[120:121], v[210:211], v[150:151], v[116:117] op_sel:[0,0,1] op_sel_hi:[1,1,0]
	v_pk_fma_f32 v[180:181], v[174:175], s[2:3], v[0:1] op_sel_hi:[1,0,1]
	v_pk_mul_f32 v[0:1], v[124:125], v[168:169] op_sel:[1,0]
	v_pk_fma_f32 v[116:117], v[210:211], v[150:151], v[116:117] op_sel:[0,0,1] op_sel_hi:[0,1,0] neg_lo:[0,0,1] neg_hi:[0,0,1]
	v_mov_b32_e32 v150, v6
	v_mov_b32_e32 v151, v120
	;; [unrolled: 1-line block ×4, first 2 shown]
	v_pk_fma_f32 v[2:3], v[124:125], v[168:169], v[0:1] op_sel:[0,0,1] op_sel_hi:[0,1,0]
	v_pk_fma_f32 v[0:1], v[124:125], v[168:169], v[0:1] op_sel:[0,0,1] op_sel_hi:[0,1,0] neg_lo:[0,0,1] neg_hi:[0,0,1]
	v_pk_add_f32 v[156:157], v[150:151], v[152:153] neg_lo:[0,1] neg_hi:[0,1]
	v_mov_b32_e32 v115, v9
	v_mov_b32_e32 v119, v113
	;; [unrolled: 1-line block ×5, first 2 shown]
	v_pk_add_f32 v[122:123], v[114:115], v[118:119]
	v_pk_add_f32 v[126:127], v[114:115], v[118:119] neg_lo:[0,1] neg_hi:[0,1]
	v_pk_add_f32 v[156:157], v[156:157], v[0:1]
	v_fma_f32 v4, -0.5, v122, v2
	v_pk_add_f32 v[124:125], v[6:7], v[120:121] neg_lo:[0,1] neg_hi:[0,1]
	v_mov_b32_e32 v157, v127
	v_fmamk_f32 v8, v125, 0xbf737871, v4
	v_pk_mul_f32 v[156:157], v[156:157], s[2:3]
	v_fmac_f32_e32 v4, 0x3f737871, v125
	v_sub_f32_e32 v0, v8, v157
	v_pk_add_f32 v[150:151], v[152:153], v[150:151] neg_lo:[0,1] neg_hi:[0,1]
	v_add_f32_e32 v168, v156, v0
	v_add_f32_e32 v0, v157, v4
	v_mov_b32_e32 v4, v151
	v_mov_b32_e32 v3, v1
	v_add_f32_e32 v0, v156, v0
	v_pk_add_f32 v[156:157], v[6:7], v[120:121]
	v_mov_b32_e32 v8, v2
	v_pk_add_f32 v[150:151], v[150:151], v[4:5]
	v_fmac_f32_e32 v8, -0.5, v156
	v_mov_b32_e32 v151, v125
	v_pk_add_f32 v[2:3], v[2:3], v[6:7]
	v_fmamk_f32 v15, v127, 0x3f737871, v8
	v_pk_mul_f32 v[150:151], v[150:151], s[2:3]
	v_pk_add_f32 v[2:3], v[2:3], v[114:115]
	v_sub_f32_e32 v4, v15, v151
	v_fmac_f32_e32 v8, 0xbf737871, v127
	v_pk_add_f32 v[2:3], v[2:3], v[118:119]
	v_mov_b32_e32 v116, v5
	v_mov_b32_e32 v112, v9
	v_add_f32_e32 v156, v150, v4
	v_add_f32_e32 v4, v151, v8
	v_pk_add_f32 v[190:191], v[2:3], v[120:121]
	v_pk_add_f32 v[2:3], v[116:117], v[112:113] neg_lo:[0,1] neg_hi:[0,1]
	v_add_f32_e32 v178, v150, v4
	v_mov_b32_e32 v4, v3
	v_pk_add_f32 v[2:3], v[2:3], v[4:5]
	v_fma_f32 v6, -0.5, v123, v1
	v_mov_b32_e32 v3, v126
	v_fmamk_f32 v7, v124, 0x3f737871, v6
	v_pk_mul_f32 v[2:3], v[2:3], s[2:3]
	v_fmac_f32_e32 v6, 0xbf737871, v124
	v_add_f32_e32 v4, v3, v7
	v_add_f32_e32 v182, v2, v4
	v_pk_add_f32 v[4:5], v[112:113], v[116:117] neg_lo:[0,1] neg_hi:[0,1]
	v_sub_f32_e32 v3, v6, v3
	v_mov_b32_e32 v6, v5
	v_pk_add_f32 v[4:5], v[4:5], v[6:7]
	v_fmac_f32_e32 v1, -0.5, v157
	v_mov_b32_e32 v5, v124
	v_add_f32_e32 v2, v2, v3
	v_fmamk_f32 v3, v126, 0xbf737871, v1
	v_pk_mul_f32 v[4:5], v[4:5], s[2:3]
	v_fmac_f32_e32 v1, 0x3f737871, v126
	v_add_f32_e32 v3, v5, v3
	v_add_f32_e32 v164, v4, v3
	v_sub_f32_e32 v1, v1, v5
	v_pk_mul_f32 v[2:3], v[2:3], s[8:9] op_sel_hi:[0,1]
	v_add_f32_e32 v184, v4, v1
	v_pk_add_f32 v[4:5], v[128:129], v[170:171]
	v_pk_fma_f32 v[186:187], v[0:1], s[20:21], v[2:3] op_sel_hi:[0,1,1] neg_lo:[0,0,1] neg_hi:[0,0,1]
	v_pk_mul_f32 v[0:1], v[108:109], v[166:167] op_sel:[1,0]
	v_pk_add_f32 v[4:5], v[4:5], v[144:145]
	ds_read2_b64 v[112:115], v246 offset1:120
	ds_read2_b64 v[150:153], v71 offset0:80 offset1:200
	ds_read2_b64 v[124:127], v91 offset0:32 offset1:152
	;; [unrolled: 1-line block ×4, first 2 shown]
	v_pk_fma_f32 v[2:3], v[108:109], v[166:167], v[0:1] op_sel:[0,0,1] op_sel_hi:[0,1,0]
	v_pk_fma_f32 v[0:1], v[108:109], v[166:167], v[0:1] op_sel:[0,0,1] op_sel_hi:[0,1,0] neg_lo:[0,0,1] neg_hi:[0,0,1]
	v_pk_add_f32 v[4:5], v[4:5], v[140:141]
	v_accvgpr_read_b32 v0, a138
	v_pk_add_f32 v[192:193], v[4:5], v[136:137]
	s_waitcnt lgkmcnt(3)
	v_pk_mul_f32 v[4:5], v[0:1], v[152:153] op_sel_hi:[0,1]
	v_pk_fma_f32 v[108:109], v[110:111], v[152:153], v[4:5] op_sel:[0,0,1] op_sel_hi:[1,1,0]
	v_pk_fma_f32 v[4:5], v[110:111], v[152:153], v[4:5] op_sel:[0,0,1] op_sel_hi:[0,1,0] neg_lo:[0,0,1] neg_hi:[0,0,1]
	v_accvgpr_read_b32 v0, a140
	v_mov_b32_e32 v109, v5
	v_pk_mul_f32 v[4:5], v[104:105], v[162:163] op_sel:[1,0]
	s_waitcnt lgkmcnt(2)
	v_pk_mul_f32 v[6:7], v[0:1], v[126:127] op_sel_hi:[0,1]
	v_pk_fma_f32 v[8:9], v[104:105], v[162:163], v[4:5] op_sel:[0,0,1] op_sel_hi:[1,1,0]
	v_pk_fma_f32 v[4:5], v[104:105], v[162:163], v[4:5] op_sel:[0,0,1] op_sel_hi:[0,1,0] neg_lo:[0,0,1] neg_hi:[0,0,1]
	v_pk_fma_f32 v[104:105], v[106:107], v[126:127], v[6:7] op_sel:[0,0,1] op_sel_hi:[1,1,0]
	v_pk_fma_f32 v[6:7], v[106:107], v[126:127], v[6:7] op_sel:[0,0,1] op_sel_hi:[0,1,0] neg_lo:[0,0,1] neg_hi:[0,0,1]
	v_mov_b32_e32 v105, v7
	v_pk_mul_f32 v[6:7], v[100:101], v[158:159] op_sel:[1,0]
	v_accvgpr_read_b32 v0, a144
	v_pk_fma_f32 v[106:107], v[100:101], v[158:159], v[6:7] op_sel:[0,0,1] op_sel_hi:[1,1,0]
	v_pk_fma_f32 v[110:111], v[100:101], v[158:159], v[6:7] op_sel:[0,0,1] op_sel_hi:[0,1,0] neg_lo:[0,0,1] neg_hi:[0,0,1]
	s_waitcnt lgkmcnt(1)
	v_pk_mul_f32 v[6:7], v[0:1], v[122:123] op_sel_hi:[0,1]
	v_pk_fma_f32 v[100:101], v[102:103], v[122:123], v[6:7] op_sel:[0,0,1] op_sel_hi:[1,1,0]
	v_pk_fma_f32 v[6:7], v[102:103], v[122:123], v[6:7] op_sel:[0,0,1] op_sel_hi:[0,1,0] neg_lo:[0,0,1] neg_hi:[0,0,1]
	v_accvgpr_read_b32 v0, a148
	v_mov_b32_e32 v101, v7
	v_pk_mul_f32 v[6:7], v[96:97], v[154:155] op_sel:[1,0]
	s_waitcnt lgkmcnt(0)
	v_pk_mul_f32 v[102:103], v[0:1], v[118:119] op_sel_hi:[0,1]
	v_pk_fma_f32 v[122:123], v[96:97], v[154:155], v[6:7] op_sel:[0,0,1] op_sel_hi:[1,1,0]
	v_pk_fma_f32 v[6:7], v[96:97], v[154:155], v[6:7] op_sel:[0,0,1] op_sel_hi:[0,1,0] neg_lo:[0,0,1] neg_hi:[0,0,1]
	v_pk_fma_f32 v[96:97], v[98:99], v[118:119], v[102:103] op_sel:[0,0,1] op_sel_hi:[1,1,0]
	v_pk_fma_f32 v[98:99], v[98:99], v[118:119], v[102:103] op_sel:[0,0,1] op_sel_hi:[0,1,0] neg_lo:[0,0,1] neg_hi:[0,0,1]
	v_mov_b32_e32 v97, v99
	v_pk_mul_f32 v[98:99], v[212:213], v[148:149] op_sel:[1,0]
	v_mov_b32_e32 v118, v8
	v_pk_fma_f32 v[154:155], v[212:213], v[148:149], v[98:99] op_sel:[0,0,1] op_sel_hi:[1,1,0]
	v_mov_b32_e32 v126, v106
	v_mov_b32_e32 v119, v154
	;; [unrolled: 1-line block ×3, first 2 shown]
	v_pk_add_f32 v[152:153], v[118:119], v[126:127] neg_lo:[0,1] neg_hi:[0,1]
	v_mov_b32_e32 v107, v111
	v_mov_b32_e32 v123, v7
	v_pk_fma_f32 v[148:149], v[212:213], v[148:149], v[98:99] op_sel:[0,0,1] op_sel_hi:[0,1,0] neg_lo:[0,0,1] neg_hi:[0,0,1]
	v_mov_b32_e32 v0, v153
	v_mov_b32_e32 v9, v5
	;; [unrolled: 1-line block ×3, first 2 shown]
	v_pk_add_f32 v[102:103], v[106:107], v[122:123]
	v_pk_add_f32 v[166:167], v[106:107], v[122:123] neg_lo:[0,1] neg_hi:[0,1]
	v_pk_add_f32 v[152:153], v[152:153], v[0:1]
	v_fma_f32 v4, -0.5, v102, v2
	v_pk_add_f32 v[162:163], v[8:9], v[154:155] neg_lo:[0,1] neg_hi:[0,1]
	v_mov_b32_e32 v153, v167
	v_fmamk_f32 v6, v163, 0xbf737871, v4
	v_pk_mul_f32 v[158:159], v[152:153], s[2:3]
	v_fmac_f32_e32 v4, 0x3f737871, v163
	v_sub_f32_e32 v0, v6, v159
	v_add_f32_e32 v152, v158, v0
	v_add_f32_e32 v0, v159, v4
	v_pk_add_f32 v[118:119], v[126:127], v[118:119] neg_lo:[0,1] neg_hi:[0,1]
	v_add_f32_e32 v102, v158, v0
	v_mov_b32_e32 v0, v119
	v_mov_b32_e32 v3, v1
	v_pk_add_f32 v[158:159], v[8:9], v[154:155]
	v_mov_b32_e32 v4, v2
	v_pk_add_f32 v[118:119], v[118:119], v[0:1]
	v_fmac_f32_e32 v4, -0.5, v158
	v_mov_b32_e32 v119, v163
	v_pk_add_f32 v[2:3], v[2:3], v[8:9]
	v_fmamk_f32 v6, v167, 0x3f737871, v4
	v_pk_mul_f32 v[118:119], v[118:119], s[2:3]
	v_pk_add_f32 v[2:3], v[2:3], v[106:107]
	v_sub_f32_e32 v0, v6, v119
	v_fmac_f32_e32 v4, 0xbf737871, v167
	v_pk_add_f32 v[2:3], v[2:3], v[122:123]
	v_mov_b32_e32 v148, v5
	v_mov_b32_e32 v6, v111
	v_add_f32_e32 v126, v118, v0
	v_add_f32_e32 v0, v119, v4
	v_pk_add_f32 v[106:107], v[2:3], v[154:155]
	v_pk_add_f32 v[2:3], v[148:149], v[6:7] neg_lo:[0,1] neg_hi:[0,1]
	v_add_f32_e32 v118, v118, v0
	v_mov_b32_e32 v0, v3
	v_pk_add_f32 v[2:3], v[2:3], v[0:1]
	v_fma_f32 v4, -0.5, v103, v1
	v_mov_b32_e32 v3, v166
	v_fmamk_f32 v8, v162, 0x3f737871, v4
	v_pk_mul_f32 v[2:3], v[2:3], s[2:3]
	v_fmac_f32_e32 v4, 0xbf737871, v162
	v_add_f32_e32 v0, v3, v8
	v_add_f32_e32 v158, v2, v0
	v_sub_f32_e32 v0, v4, v3
	v_add_f32_e32 v110, v2, v0
	v_pk_add_f32 v[2:3], v[6:7], v[148:149] neg_lo:[0,1] neg_hi:[0,1]
	v_fmac_f32_e32 v1, -0.5, v159
	v_mov_b32_e32 v0, v3
	v_pk_add_f32 v[2:3], v[2:3], v[0:1]
	v_fmamk_f32 v4, v166, 0xbf737871, v1
	v_mov_b32_e32 v3, v162
	v_pk_mul_f32 v[2:3], v[2:3], s[2:3]
	v_fmac_f32_e32 v1, 0x3f737871, v166
	v_add_f32_e32 v0, v3, v4
	v_add_f32_e32 v148, v2, v0
	v_sub_f32_e32 v0, v1, v3
	v_add_f32_e32 v122, v2, v0
	v_pk_mul_f32 v[0:1], v[84:85], v[130:131] op_sel:[1,0]
	s_nop 0
	v_pk_fma_f32 v[162:163], v[84:85], v[130:131], v[0:1] op_sel:[0,0,1] op_sel_hi:[0,1,0]
	v_pk_fma_f32 v[130:131], v[84:85], v[130:131], v[0:1] op_sel:[0,0,1] op_sel_hi:[0,1,0] neg_lo:[0,0,1] neg_hi:[0,0,1]
	v_mov_b32_e32 v0, v87
	v_pk_mul_f32 v[0:1], v[0:1], v[150:151] op_sel_hi:[0,1]
	v_pk_fma_f32 v[84:85], v[86:87], v[150:151], v[0:1] op_sel:[0,0,1] op_sel_hi:[1,1,0]
	v_pk_fma_f32 v[0:1], v[86:87], v[150:151], v[0:1] op_sel:[0,0,1] op_sel_hi:[0,1,0] neg_lo:[0,0,1] neg_hi:[0,0,1]
	v_mov_b32_e32 v85, v1
	v_pk_mul_f32 v[0:1], v[80:81], v[146:147] op_sel:[1,0]
	v_mov_b32_e32 v163, v131
	v_pk_fma_f32 v[150:151], v[80:81], v[146:147], v[0:1] op_sel:[0,0,1] op_sel_hi:[1,1,0]
	v_pk_fma_f32 v[86:87], v[80:81], v[146:147], v[0:1] op_sel:[0,0,1] op_sel_hi:[0,1,0] neg_lo:[0,0,1] neg_hi:[0,0,1]
	v_mov_b32_e32 v0, v83
	v_pk_mul_f32 v[0:1], v[0:1], v[124:125] op_sel_hi:[0,1]
	v_pk_fma_f32 v[80:81], v[82:83], v[124:125], v[0:1] op_sel:[0,0,1] op_sel_hi:[1,1,0]
	v_pk_fma_f32 v[0:1], v[82:83], v[124:125], v[0:1] op_sel:[0,0,1] op_sel_hi:[0,1,0] neg_lo:[0,0,1] neg_hi:[0,0,1]
	v_mov_b32_e32 v81, v1
	v_pk_mul_f32 v[0:1], v[76:77], v[142:143] op_sel:[1,0]
	v_mov_b32_e32 v2, v150
	;; [unrolled: 9-line block ×3, first 2 shown]
	v_pk_fma_f32 v[120:121], v[72:73], v[138:139], v[0:1] op_sel:[0,0,1] op_sel_hi:[1,1,0]
	v_pk_fma_f32 v[78:79], v[72:73], v[138:139], v[0:1] op_sel:[0,0,1] op_sel_hi:[0,1,0] neg_lo:[0,0,1] neg_hi:[0,0,1]
	v_accvgpr_read_b32 v0, a136
	v_pk_mul_f32 v[0:1], v[0:1], v[116:117] op_sel_hi:[0,1]
	v_pk_fma_f32 v[72:73], v[74:75], v[116:117], v[0:1] op_sel:[0,0,1] op_sel_hi:[1,1,0]
	v_pk_fma_f32 v[0:1], v[74:75], v[116:117], v[0:1] op_sel:[0,0,1] op_sel_hi:[0,1,0] neg_lo:[0,0,1] neg_hi:[0,0,1]
	v_mov_b32_e32 v73, v1
	v_pk_mul_f32 v[0:1], v[244:245], v[134:135] op_sel:[1,0]
	v_mov_b32_e32 v121, v79
	v_pk_fma_f32 v[6:7], v[244:245], v[134:135], v[0:1] op_sel:[0,0,1] op_sel_hi:[1,1,0]
	v_pk_fma_f32 v[4:5], v[244:245], v[134:135], v[0:1] op_sel:[0,0,1] op_sel_hi:[0,1,0] neg_lo:[0,0,1] neg_hi:[0,0,1]
	v_pk_add_f32 v[0:1], v[112:113], v[84:85]
	v_mov_b32_e32 v3, v6
	v_pk_add_f32 v[0:1], v[0:1], v[80:81]
	v_mov_b32_e32 v134, v124
	;; [unrolled: 2-line block ×3, first 2 shown]
	v_pk_add_f32 v[74:75], v[0:1], v[72:73]
	v_pk_add_f32 v[0:1], v[124:125], v[120:121]
	v_pk_add_f32 v[138:139], v[2:3], v[134:135] neg_lo:[0,1] neg_hi:[0,1]
	v_fma_f32 v4, -0.5, v0, v162
	v_mov_b32_e32 v0, v139
	v_mov_b32_e32 v151, v87
	;; [unrolled: 1-line block ×3, first 2 shown]
	v_pk_add_f32 v[8:9], v[124:125], v[120:121] neg_lo:[0,1] neg_hi:[0,1]
	v_pk_add_f32 v[138:139], v[138:139], v[0:1]
	v_pk_add_f32 v[116:117], v[150:151], v[6:7] neg_lo:[0,1] neg_hi:[0,1]
	v_mov_b32_e32 v139, v9
	v_fmamk_f32 v15, v117, 0xbf737871, v4
	v_pk_mul_f32 v[138:139], v[138:139], s[2:3]
	v_fmac_f32_e32 v4, 0x3f737871, v117
	v_sub_f32_e32 v0, v15, v139
	v_pk_add_f32 v[2:3], v[134:135], v[2:3] neg_lo:[0,1] neg_hi:[0,1]
	v_add_f32_e32 v130, v138, v0
	v_add_f32_e32 v0, v139, v4
	v_mov_b32_e32 v4, v3
	v_add_f32_e32 v0, v138, v0
	v_pk_add_f32 v[138:139], v[150:151], v[6:7]
	v_mov_b32_e32 v15, v162
	v_pk_add_f32 v[2:3], v[2:3], v[4:5]
	v_fmac_f32_e32 v15, -0.5, v138
	v_mov_b32_e32 v3, v117
	v_fmamk_f32 v19, v9, 0x3f737871, v15
	v_pk_mul_f32 v[2:3], v[2:3], s[2:3]
	v_pk_add_f32 v[134:135], v[162:163], v[150:151]
	v_sub_f32_e32 v4, v19, v3
	v_add_f32_e32 v82, v2, v4
	v_pk_add_f32 v[124:125], v[134:135], v[124:125]
	v_mov_b32_e32 v4, v87
	v_mov_b32_e32 v78, v83
	v_pk_add_f32 v[120:121], v[124:125], v[120:121]
	v_pk_add_f32 v[86:87], v[4:5], v[78:79] neg_lo:[0,1] neg_hi:[0,1]
	v_pk_add_f32 v[6:7], v[120:121], v[6:7]
	v_mov_b32_e32 v120, v87
	v_fmac_f32_e32 v15, 0xbf737871, v9
	v_pk_add_f32 v[86:87], v[86:87], v[120:121]
	v_add_f32_e32 v3, v3, v15
	v_fma_f32 v1, -0.5, v1, v131
	v_mov_b32_e32 v87, v8
	v_add_f32_e32 v2, v2, v3
	v_fmamk_f32 v3, v116, 0x3f737871, v1
	v_pk_mul_f32 v[86:87], v[86:87], s[2:3]
	v_fmac_f32_e32 v1, 0xbf737871, v116
	v_add_f32_e32 v3, v87, v3
	v_sub_f32_e32 v1, v1, v87
	v_fmac_f32_e32 v131, -0.5, v139
	v_pk_add_f32 v[4:5], v[78:79], v[4:5] neg_lo:[0,1] neg_hi:[0,1]
	v_add_f32_e32 v142, v86, v3
	v_add_f32_e32 v86, v86, v1
	v_fmamk_f32 v1, v8, 0xbf737871, v131
	v_mov_b32_e32 v78, v5
	v_fmac_f32_e32 v131, 0x3f737871, v8
	v_pk_add_f32 v[8:9], v[80:81], v[76:77]
	v_pk_add_f32 v[4:5], v[4:5], v[78:79]
	v_pk_fma_f32 v[124:125], v[8:9], 0.5, v[112:113] op_sel_hi:[1,0,1] neg_lo:[1,0,0] neg_hi:[1,0,0]
	v_pk_add_f32 v[8:9], v[84:85], v[72:73] neg_lo:[0,1] neg_hi:[0,1]
	v_mov_b32_e32 v5, v116
	v_pk_mul_f32 v[134:135], v[8:9], s[4:5] op_sel_hi:[1,0]
	v_pk_add_f32 v[116:117], v[80:81], v[76:77] neg_lo:[0,1] neg_hi:[0,1]
	v_pk_add_f32 v[120:121], v[84:85], v[80:81] neg_lo:[0,1] neg_hi:[0,1]
	v_pk_add_f32 v[150:151], v[72:73], v[76:77] neg_lo:[0,1] neg_hi:[0,1]
	v_pk_mul_f32 v[4:5], v[4:5], s[2:3]
	v_pk_mul_f32 v[138:139], v[116:117], s[8:9] op_sel_hi:[1,0]
	v_pk_add_f32 v[120:121], v[120:121], v[150:151]
	v_pk_add_f32 v[150:151], v[124:125], v[134:135] op_sel:[0,1] op_sel_hi:[1,0] neg_lo:[0,1] neg_hi:[0,1]
	v_pk_add_f32 v[124:125], v[124:125], v[134:135] op_sel:[0,1] op_sel_hi:[1,0]
	v_add_f32_e32 v1, v5, v1
	v_pk_add_f32 v[134:135], v[124:125], v[138:139] op_sel:[0,1] op_sel_hi:[1,0]
	v_pk_add_f32 v[138:139], v[150:151], v[138:139] op_sel:[0,1] op_sel_hi:[1,0] neg_lo:[0,1] neg_hi:[0,1]
	v_pk_mul_f32 v[142:143], v[142:143], s[8:9] op_sel_hi:[0,1]
	v_add_f32_e32 v78, v4, v1
	v_sub_f32_e32 v1, v131, v5
	v_mov_b32_e32 v124, v138
	v_mov_b32_e32 v125, v135
	v_pk_fma_f32 v[150:151], v[130:131], s[10:11], v[142:143] neg_lo:[0,0,1] neg_hi:[0,0,1]
	v_pk_fma_f32 v[130:131], v[130:131], s[10:11], v[142:143] op_sel_hi:[0,1,1]
	v_pk_fma_f32 v[124:125], v[120:121], s[2:3], v[124:125] op_sel_hi:[1,0,1]
	v_mov_b32_e32 v151, v131
	v_pk_add_f32 v[146:147], v[74:75], v[6:7]
	v_pk_add_f32 v[130:131], v[124:125], v[150:151]
	v_accvgpr_read_b32 v15, a84
	s_barrier
	ds_write2_b64 v15, v[146:147], v[130:131] offset1:10
	v_pk_add_f32 v[130:131], v[84:85], v[72:73]
	v_pk_add_f32 v[72:73], v[76:77], v[72:73] neg_lo:[0,1] neg_hi:[0,1]
	v_pk_mul_f32 v[76:77], v[78:79], s[4:5] op_sel_hi:[0,1]
	v_pk_fma_f32 v[78:79], v[82:83], s[16:17], v[76:77] neg_lo:[0,0,1] neg_hi:[0,0,1]
	v_pk_fma_f32 v[76:77], v[82:83], s[16:17], v[76:77] op_sel_hi:[0,1,1]
	v_pk_fma_f32 v[112:113], v[130:131], 0.5, v[112:113] op_sel_hi:[1,0,1] neg_lo:[1,0,0] neg_hi:[1,0,0]
	v_pk_add_f32 v[80:81], v[80:81], v[84:85] neg_lo:[0,1] neg_hi:[0,1]
	v_mov_b32_e32 v79, v77
	v_pk_mul_f32 v[76:77], v[116:117], s[4:5] op_sel_hi:[1,0]
	v_pk_add_f32 v[72:73], v[80:81], v[72:73]
	v_pk_mul_f32 v[8:9], v[8:9], s[8:9] op_sel_hi:[1,0]
	v_pk_add_f32 v[80:81], v[112:113], v[76:77] op_sel:[0,1] op_sel_hi:[1,0]
	v_pk_add_f32 v[76:77], v[112:113], v[76:77] op_sel:[0,1] op_sel_hi:[1,0] neg_lo:[0,1] neg_hi:[0,1]
	v_add_f32_e32 v4, v4, v1
	v_pk_add_f32 v[76:77], v[76:77], v[8:9] op_sel:[0,1] op_sel_hi:[1,0]
	v_pk_add_f32 v[8:9], v[80:81], v[8:9] op_sel:[0,1] op_sel_hi:[1,0] neg_lo:[0,1] neg_hi:[0,1]
	v_mov_b32_e32 v81, v77
	v_mov_b32_e32 v80, v8
	v_pk_mul_f32 v[4:5], v[4:5], s[4:5] op_sel_hi:[0,1]
	v_mov_b32_e32 v77, v9
	v_pk_fma_f32 v[80:81], v[72:73], s[2:3], v[80:81] op_sel_hi:[1,0,1]
	v_pk_fma_f32 v[2:3], v[2:3], s[18:19], v[4:5] op_sel_hi:[0,1,1] neg_lo:[0,0,1] neg_hi:[0,0,1]
	v_pk_fma_f32 v[4:5], v[72:73], s[2:3], v[76:77] op_sel_hi:[1,0,1]
	v_pk_add_f32 v[82:83], v[80:81], v[78:79]
	v_pk_add_f32 v[8:9], v[4:5], v[2:3]
	ds_write2_b64 v15, v[82:83], v[8:9] offset0:20 offset1:30
	v_pk_mul_f32 v[8:9], v[86:87], s[8:9] op_sel_hi:[0,1]
	v_mov_b32_e32 v135, v139
	v_pk_fma_f32 v[0:1], v[0:1], s[20:21], v[8:9] op_sel_hi:[0,1,1] neg_lo:[0,0,1] neg_hi:[0,0,1]
	v_pk_fma_f32 v[8:9], v[120:121], s[2:3], v[134:135] op_sel_hi:[1,0,1]
	v_pk_add_f32 v[6:7], v[74:75], v[6:7] neg_lo:[0,1] neg_hi:[0,1]
	v_pk_add_f32 v[72:73], v[8:9], v[0:1]
	v_pk_add_f32 v[2:3], v[4:5], v[2:3] neg_lo:[0,1] neg_hi:[0,1]
	v_pk_add_f32 v[0:1], v[8:9], v[0:1] neg_lo:[0,1] neg_hi:[0,1]
	ds_write2_b64 v15, v[72:73], v[6:7] offset0:40 offset1:50
	v_pk_add_f32 v[6:7], v[124:125], v[150:151] neg_lo:[0,1] neg_hi:[0,1]
	v_pk_add_f32 v[72:73], v[80:81], v[78:79] neg_lo:[0,1] neg_hi:[0,1]
	ds_write2_b64 v15, v[2:3], v[0:1] offset0:80 offset1:90
	v_pk_add_f32 v[0:1], v[104:105], v[100:101]
	ds_write2_b64 v15, v[6:7], v[72:73] offset0:60 offset1:70
	v_pk_fma_f32 v[6:7], v[0:1], 0.5, v[114:115] op_sel_hi:[1,0,1] neg_lo:[1,0,0] neg_hi:[1,0,0]
	v_pk_add_f32 v[0:1], v[108:109], v[96:97] neg_lo:[0,1] neg_hi:[0,1]
	v_pk_add_f32 v[2:3], v[104:105], v[100:101] neg_lo:[0,1] neg_hi:[0,1]
	v_pk_mul_f32 v[8:9], v[0:1], s[4:5] op_sel_hi:[1,0]
	v_pk_add_f32 v[4:5], v[108:109], v[104:105] neg_lo:[0,1] neg_hi:[0,1]
	v_pk_add_f32 v[74:75], v[96:97], v[100:101] neg_lo:[0,1] neg_hi:[0,1]
	v_pk_add_f32 v[98:99], v[114:115], v[108:109]
	v_pk_mul_f32 v[72:73], v[2:3], s[8:9] op_sel_hi:[1,0]
	v_pk_add_f32 v[4:5], v[4:5], v[74:75]
	v_pk_add_f32 v[74:75], v[6:7], v[8:9] op_sel:[0,1] op_sel_hi:[1,0] neg_lo:[0,1] neg_hi:[0,1]
	v_pk_add_f32 v[6:7], v[6:7], v[8:9] op_sel:[0,1] op_sel_hi:[1,0]
	v_pk_add_f32 v[98:99], v[98:99], v[104:105]
	v_pk_add_f32 v[8:9], v[6:7], v[72:73] op_sel:[0,1] op_sel_hi:[1,0]
	v_pk_add_f32 v[72:73], v[74:75], v[72:73] op_sel:[0,1] op_sel_hi:[1,0] neg_lo:[0,1] neg_hi:[0,1]
	v_pk_mul_f32 v[74:75], v[158:159], s[8:9] op_sel_hi:[0,1]
	v_pk_add_f32 v[98:99], v[98:99], v[100:101]
	v_mov_b32_e32 v6, v72
	v_mov_b32_e32 v7, v9
	v_pk_fma_f32 v[76:77], v[152:153], s[10:11], v[74:75] neg_lo:[0,0,1] neg_hi:[0,0,1]
	v_pk_fma_f32 v[74:75], v[152:153], s[10:11], v[74:75] op_sel_hi:[0,1,1]
	v_pk_add_f32 v[98:99], v[98:99], v[96:97]
	v_pk_fma_f32 v[6:7], v[4:5], s[2:3], v[6:7] op_sel_hi:[1,0,1]
	v_mov_b32_e32 v77, v75
	v_pk_add_f32 v[154:155], v[98:99], v[106:107]
	v_pk_add_f32 v[74:75], v[6:7], v[76:77]
	v_accvgpr_read_b32 v15, a83
	v_pk_add_f32 v[78:79], v[104:105], v[108:109] neg_lo:[0,1] neg_hi:[0,1]
	v_pk_add_f32 v[80:81], v[100:101], v[96:97] neg_lo:[0,1] neg_hi:[0,1]
	ds_write2_b64 v15, v[154:155], v[74:75] offset1:10
	v_pk_add_f32 v[74:75], v[108:109], v[96:97]
	v_pk_add_f32 v[78:79], v[78:79], v[80:81]
	v_pk_mul_f32 v[80:81], v[148:149], s[4:5] op_sel_hi:[0,1]
	v_pk_fma_f32 v[74:75], v[74:75], 0.5, v[114:115] op_sel_hi:[1,0,1] neg_lo:[1,0,0] neg_hi:[1,0,0]
	v_pk_fma_f32 v[82:83], v[126:127], s[16:17], v[80:81] neg_lo:[0,0,1] neg_hi:[0,0,1]
	v_pk_fma_f32 v[80:81], v[126:127], s[16:17], v[80:81] op_sel_hi:[0,1,1]
	v_pk_mul_f32 v[2:3], v[2:3], s[4:5] op_sel_hi:[1,0]
	v_mov_b32_e32 v83, v81
	v_pk_mul_f32 v[0:1], v[0:1], s[8:9] op_sel_hi:[1,0]
	v_pk_add_f32 v[80:81], v[74:75], v[2:3] op_sel:[0,1] op_sel_hi:[1,0]
	v_pk_add_f32 v[2:3], v[74:75], v[2:3] op_sel:[0,1] op_sel_hi:[1,0] neg_lo:[0,1] neg_hi:[0,1]
	v_pk_mul_f32 v[84:85], v[122:123], s[4:5] op_sel_hi:[0,1]
	v_pk_add_f32 v[2:3], v[2:3], v[0:1] op_sel:[0,1] op_sel_hi:[1,0]
	v_pk_add_f32 v[0:1], v[80:81], v[0:1] op_sel:[0,1] op_sel_hi:[1,0] neg_lo:[0,1] neg_hi:[0,1]
	v_mov_b32_e32 v75, v3
	v_mov_b32_e32 v74, v0
	;; [unrolled: 1-line block ×3, first 2 shown]
	v_pk_fma_f32 v[74:75], v[78:79], s[2:3], v[74:75] op_sel_hi:[1,0,1]
	v_pk_fma_f32 v[84:85], v[118:119], s[18:19], v[84:85] op_sel_hi:[0,1,1] neg_lo:[0,0,1] neg_hi:[0,0,1]
	v_pk_fma_f32 v[0:1], v[78:79], s[2:3], v[2:3] op_sel_hi:[1,0,1]
	v_pk_add_f32 v[80:81], v[74:75], v[82:83]
	v_pk_add_f32 v[2:3], v[0:1], v[84:85]
	ds_write2_b64 v15, v[80:81], v[2:3] offset0:20 offset1:30
	v_pk_mul_f32 v[2:3], v[110:111], s[8:9] op_sel_hi:[0,1]
	v_mov_b32_e32 v9, v73
	v_pk_fma_f32 v[2:3], v[102:103], s[20:21], v[2:3] op_sel_hi:[0,1,1] neg_lo:[0,0,1] neg_hi:[0,0,1]
	v_pk_fma_f32 v[4:5], v[4:5], s[2:3], v[8:9] op_sel_hi:[1,0,1]
	v_pk_add_f32 v[72:73], v[98:99], v[106:107] neg_lo:[0,1] neg_hi:[0,1]
	v_pk_add_f32 v[8:9], v[4:5], v[2:3]
	ds_write2_b64 v15, v[8:9], v[72:73] offset0:40 offset1:50
	v_pk_add_f32 v[6:7], v[6:7], v[76:77] neg_lo:[0,1] neg_hi:[0,1]
	v_pk_add_f32 v[8:9], v[74:75], v[82:83] neg_lo:[0,1] neg_hi:[0,1]
	;; [unrolled: 1-line block ×5, first 2 shown]
	ds_write2_b64 v15, v[6:7], v[8:9] offset0:60 offset1:70
	ds_write2_b64 v15, v[0:1], v[2:3] offset0:80 offset1:90
	v_pk_add_f32 v[2:3], v[180:181], v[186:187]
	v_accvgpr_read_b32 v15, a67
	ds_write2_b64 v15, v[2:3], v[188:189] offset0:40 offset1:50
	v_pk_mul_f32 v[2:3], v[182:183], s[8:9] op_sel_hi:[0,1]
	v_pk_fma_f32 v[4:5], v[168:169], s[10:11], v[2:3] neg_lo:[0,0,1] neg_hi:[0,0,1]
	v_pk_fma_f32 v[2:3], v[168:169], s[10:11], v[2:3] op_sel_hi:[0,1,1]
	v_mov_b32_e32 v177, v179
	v_mov_b32_e32 v5, v3
	v_pk_fma_f32 v[2:3], v[174:175], s[2:3], v[176:177] op_sel_hi:[1,0,1]
	v_pk_add_f32 v[0:1], v[192:193], v[190:191]
	v_pk_add_f32 v[6:7], v[2:3], v[4:5] neg_lo:[0,1] neg_hi:[0,1]
	v_pk_add_f32 v[2:3], v[2:3], v[4:5]
	ds_write2_b64 v15, v[0:1], v[2:3] offset1:10
	v_pk_add_f32 v[2:3], v[170:171], v[136:137]
	v_pk_add_f32 v[4:5], v[144:145], v[170:171] neg_lo:[0,1] neg_hi:[0,1]
	v_pk_fma_f32 v[2:3], v[2:3], 0.5, v[128:129] op_sel_hi:[1,0,1] neg_lo:[1,0,0] neg_hi:[1,0,0]
	v_pk_add_f32 v[8:9], v[140:141], v[136:137] neg_lo:[0,1] neg_hi:[0,1]
	v_pk_mul_f32 v[0:1], v[184:185], s[4:5] op_sel_hi:[0,1]
	v_pk_add_f32 v[4:5], v[4:5], v[8:9]
	v_pk_fma_f32 v[8:9], v[172:173], s[4:5], v[2:3] op_sel:[1,0,0] op_sel_hi:[0,0,1] neg_lo:[1,0,0] neg_hi:[1,0,0]
	v_pk_fma_f32 v[2:3], v[172:173], s[4:5], v[2:3] op_sel:[1,0,0] op_sel_hi:[0,0,1]
	v_pk_fma_f32 v[2:3], v[132:133], s[8:9], v[2:3] op_sel:[1,0,0] op_sel_hi:[0,0,1] neg_lo:[1,0,0] neg_hi:[1,0,0]
	v_pk_fma_f32 v[8:9], v[132:133], s[8:9], v[8:9] op_sel:[1,0,0] op_sel_hi:[0,0,1]
	v_mov_b32_e32 v72, v8
	v_mov_b32_e32 v73, v3
	v_pk_fma_f32 v[0:1], v[178:179], s[18:19], v[0:1] op_sel_hi:[0,1,1] neg_lo:[0,0,1] neg_hi:[0,0,1]
	v_pk_fma_f32 v[72:73], v[4:5], s[2:3], v[72:73] op_sel_hi:[1,0,1]
	v_mov_b32_e32 v3, v9
	v_pk_add_f32 v[74:75], v[72:73], v[0:1] neg_lo:[0,1] neg_hi:[0,1]
	v_pk_add_f32 v[0:1], v[72:73], v[0:1]
	v_pk_mul_f32 v[72:73], v[164:165], s[4:5] op_sel_hi:[0,1]
	v_pk_fma_f32 v[76:77], v[156:157], s[16:17], v[72:73] neg_lo:[0,0,1] neg_hi:[0,0,1]
	v_pk_fma_f32 v[72:73], v[156:157], s[16:17], v[72:73] op_sel_hi:[0,1,1]
	v_mov_b32_e32 v77, v73
	v_pk_fma_f32 v[2:3], v[4:5], s[2:3], v[2:3] op_sel_hi:[1,0,1]
	v_accvgpr_read_b32 v8, a67
	v_pk_add_f32 v[4:5], v[2:3], v[76:77] neg_lo:[0,1] neg_hi:[0,1]
	v_pk_add_f32 v[2:3], v[2:3], v[76:77]
	v_pk_add_f32 v[160:161], v[180:181], v[186:187] neg_lo:[0,1] neg_hi:[0,1]
	ds_write2_b64 v8, v[2:3], v[0:1] offset0:20 offset1:30
	ds_write2_b64 v8, v[6:7], v[4:5] offset0:60 offset1:70
	;; [unrolled: 1-line block ×3, first 2 shown]
	s_waitcnt lgkmcnt(0)
	s_barrier
	ds_read2_b64 v[80:83], v243 offset0:96 offset1:216
	ds_read2_b64 v[76:79], v59 offset0:16 offset1:136
	;; [unrolled: 1-line block ×3, first 2 shown]
	v_accvgpr_read_b32 v0, a86
	v_mov_b32_e32 v128, v63
	v_mov_b32_e32 v95, v91
	s_waitcnt lgkmcnt(1)
	v_pk_mul_f32 v[0:1], v[0:1], v[76:77] op_sel_hi:[0,1]
	v_pk_fma_f32 v[8:9], v[54:55], v[76:77], v[0:1] op_sel:[0,0,1] op_sel_hi:[1,1,0]
	v_pk_fma_f32 v[0:1], v[54:55], v[76:77], v[0:1] op_sel:[0,0,1] op_sel_hi:[0,1,0] neg_lo:[0,0,1] neg_hi:[0,0,1]
	v_accvgpr_read_b32 v0, a88
	v_mov_b32_e32 v9, v1
	s_waitcnt lgkmcnt(0)
	v_pk_mul_f32 v[0:1], v[0:1], v[72:73] op_sel_hi:[0,1]
	v_pk_fma_f32 v[76:77], v[50:51], v[72:73], v[0:1] op_sel:[0,0,1] op_sel_hi:[1,1,0]
	v_pk_fma_f32 v[0:1], v[50:51], v[72:73], v[0:1] op_sel:[0,0,1] op_sel_hi:[0,1,0] neg_lo:[0,0,1] neg_hi:[0,0,1]
	v_mov_b32_e32 v77, v1
	v_pk_add_f32 v[0:1], v[8:9], v[76:77]
	v_pk_add_f32 v[2:3], v[8:9], v[76:77] neg_lo:[0,1] neg_hi:[0,1]
	v_pk_fma_f32 v[0:1], v[0:1], 0.5, v[80:81] op_sel_hi:[1,0,1] neg_lo:[1,0,0] neg_hi:[1,0,0]
	v_pk_mul_f32 v[2:3], v[2:3], s[12:13] op_sel_hi:[1,0]
	s_mov_b32 s13, s14
	v_pk_add_f32 v[50:51], v[0:1], v[2:3] op_sel:[0,1] op_sel_hi:[1,0] neg_lo:[0,1] neg_hi:[0,1]
	v_pk_add_f32 v[100:101], v[2:3], v[0:1] op_sel:[1,0] op_sel_hi:[0,1]
	ds_read2_b64 v[0:3], v39 offset0:64 offset1:184
	ds_read2_b64 v[4:7], v35 offset0:112 offset1:232
	;; [unrolled: 1-line block ×3, first 2 shown]
	v_mov_b32_e32 v55, v51
	v_mov_b32_e32 v54, v100
	s_waitcnt lgkmcnt(2)
	v_pk_mul_f32 v[72:73], v[52:53], v[2:3] op_sel:[1,0]
	v_accvgpr_read_b32 v63, a66
	v_pk_fma_f32 v[96:97], v[52:53], v[2:3], v[72:73] op_sel:[0,0,1] op_sel_hi:[0,1,0]
	v_pk_fma_f32 v[2:3], v[52:53], v[2:3], v[72:73] op_sel:[0,0,1] op_sel_hi:[0,1,0] neg_lo:[0,0,1] neg_hi:[0,0,1]
	s_waitcnt lgkmcnt(1)
	v_pk_mul_f32 v[52:53], v[48:49], v[6:7] op_sel:[1,0]
	v_mov_b32_e32 v97, v3
	v_pk_fma_f32 v[72:73], v[48:49], v[6:7], v[52:53] op_sel:[0,0,1] op_sel_hi:[1,1,0]
	v_pk_fma_f32 v[6:7], v[48:49], v[6:7], v[52:53] op_sel:[0,0,1] op_sel_hi:[0,1,0] neg_lo:[0,0,1] neg_hi:[0,0,1]
	v_mov_b32_e32 v73, v7
	s_waitcnt lgkmcnt(0)
	v_pk_mul_f32 v[6:7], v[220:221], v[86:87] op_sel:[1,0]
	v_mov_b32_e32 v2, v96
	v_pk_fma_f32 v[48:49], v[220:221], v[86:87], v[6:7] op_sel:[0,0,1] op_sel_hi:[1,1,0]
	v_pk_fma_f32 v[6:7], v[220:221], v[86:87], v[6:7] op_sel:[0,0,1] op_sel_hi:[0,1,0] neg_lo:[0,0,1] neg_hi:[0,0,1]
	v_mov_b32_e32 v49, v7
	v_pk_add_f32 v[6:7], v[72:73], v[48:49]
	v_pk_add_f32 v[52:53], v[72:73], v[48:49] neg_lo:[0,1] neg_hi:[0,1]
	v_fmac_f32_e32 v3, -0.5, v7
	v_fmac_f32_e32 v2, -0.5, v6
	v_fmamk_f32 v7, v52, 0x3f5db3d7, v3
	v_fmamk_f32 v6, v53, 0xbf5db3d7, v2
	v_mul_f32_e32 v15, 0xbf5db3d7, v7
	v_mul_f32_e32 v19, 0.5, v7
	v_fmac_f32_e32 v3, 0xbf5db3d7, v52
	v_fmac_f32_e32 v15, 0.5, v6
	v_fmac_f32_e32 v19, 0x3f5db3d7, v6
	v_pk_add_f32 v[6:7], v[80:81], v[8:9]
	v_fmac_f32_e32 v2, 0x3f5db3d7, v53
	v_pk_add_f32 v[98:99], v[6:7], v[76:77]
	v_mov_b32_e32 v6, v3
	v_pk_add_f32 v[72:73], v[96:97], v[72:73]
	v_pk_mul_f32 v[6:7], v[6:7], s[12:13] op_sel_hi:[0,1]
	v_pk_add_f32 v[72:73], v[72:73], v[48:49]
	v_add_f32_e32 v96, v50, v15
	v_pk_fma_f32 v[80:81], v[2:3], s[6:7], v[6:7] op_sel_hi:[0,1,1] neg_lo:[0,0,1] neg_hi:[0,0,1]
	v_sub_f32_e32 v52, v50, v15
	ds_read2_b64 v[48:51], v225 offset0:112 offset1:232
	ds_read2_b64 v[6:9], v91 offset0:32 offset1:152
	;; [unrolled: 1-line block ×3, first 2 shown]
	v_accvgpr_read_b32 v2, a94
	v_add_f32_e32 v97, v101, v19
	v_sub_f32_e32 v53, v101, v19
	s_waitcnt lgkmcnt(1)
	v_pk_mul_f32 v[2:3], v[2:3], v[8:9] op_sel_hi:[0,1]
	v_pk_fma_f32 v[100:101], v[30:31], v[8:9], v[2:3] op_sel:[0,0,1] op_sel_hi:[1,1,0]
	v_pk_fma_f32 v[2:3], v[30:31], v[8:9], v[2:3] op_sel:[0,0,1] op_sel_hi:[0,1,0] neg_lo:[0,0,1] neg_hi:[0,0,1]
	v_pk_mul_f32 v[30:31], v[28:29], v[0:1] op_sel:[1,0]
	v_accvgpr_read_b32 v2, a102
	v_pk_fma_f32 v[102:103], v[28:29], v[0:1], v[30:31] op_sel:[0,0,1] op_sel_hi:[0,1,0]
	v_pk_fma_f32 v[0:1], v[28:29], v[0:1], v[30:31] op_sel:[0,0,1] op_sel_hi:[0,1,0] neg_lo:[0,0,1] neg_hi:[0,0,1]
	v_pk_mul_f32 v[28:29], v[24:25], v[4:5] op_sel:[1,0]
	v_mov_b32_e32 v101, v3
	v_pk_fma_f32 v[30:31], v[24:25], v[4:5], v[28:29] op_sel:[0,0,1] op_sel_hi:[1,1,0]
	v_pk_fma_f32 v[4:5], v[24:25], v[4:5], v[28:29] op_sel:[0,0,1] op_sel_hi:[0,1,0] neg_lo:[0,0,1] neg_hi:[0,0,1]
	s_waitcnt lgkmcnt(0)
	v_pk_mul_f32 v[2:3], v[2:3], v[106:107] op_sel_hi:[0,1]
	v_mov_b32_e32 v31, v5
	v_pk_mul_f32 v[4:5], v[10:11], v[84:85] op_sel:[1,0]
	v_pk_fma_f32 v[8:9], v[26:27], v[106:107], v[2:3] op_sel:[0,0,1] op_sel_hi:[1,1,0]
	v_pk_fma_f32 v[2:3], v[26:27], v[106:107], v[2:3] op_sel:[0,0,1] op_sel_hi:[0,1,0] neg_lo:[0,0,1] neg_hi:[0,0,1]
	v_pk_fma_f32 v[24:25], v[10:11], v[84:85], v[4:5] op_sel:[0,0,1] op_sel_hi:[1,1,0]
	v_pk_fma_f32 v[4:5], v[10:11], v[84:85], v[4:5] op_sel:[0,0,1] op_sel_hi:[0,1,0] neg_lo:[0,0,1] neg_hi:[0,0,1]
	v_mov_b32_e32 v9, v3
	v_mov_b32_e32 v25, v5
	v_pk_add_f32 v[2:3], v[100:101], v[8:9]
	v_pk_add_f32 v[26:27], v[100:101], v[8:9] neg_lo:[0,1] neg_hi:[0,1]
	v_pk_add_f32 v[4:5], v[30:31], v[24:25]
	v_pk_fma_f32 v[2:3], v[2:3], 0.5, v[50:51] op_sel_hi:[1,0,1] neg_lo:[1,0,0] neg_hi:[1,0,0]
	v_pk_mul_f32 v[26:27], v[26:27], s[12:13] op_sel_hi:[1,0]
	v_mov_b32_e32 v103, v1
	v_mov_b32_e32 v0, v102
	v_pk_add_f32 v[10:11], v[30:31], v[24:25] neg_lo:[0,1] neg_hi:[0,1]
	v_fmac_f32_e32 v1, -0.5, v5
	v_pk_add_f32 v[106:107], v[2:3], v[26:27] op_sel:[0,1] op_sel_hi:[1,0] neg_lo:[0,1] neg_hi:[0,1]
	v_pk_add_f32 v[2:3], v[26:27], v[2:3] op_sel:[1,0] op_sel_hi:[0,1]
	v_fmac_f32_e32 v0, -0.5, v4
	v_fmamk_f32 v4, v10, 0x3f5db3d7, v1
	v_mov_b32_e32 v26, v2
	v_fmamk_f32 v2, v11, 0xbf5db3d7, v0
	v_fmac_f32_e32 v0, 0x3f5db3d7, v11
	v_fmac_f32_e32 v1, 0xbf5db3d7, v10
	v_mul_f32_e32 v10, 0xbf5db3d7, v4
	v_mul_f32_e32 v11, 0.5, v4
	v_fmac_f32_e32 v10, 0.5, v2
	v_fmac_f32_e32 v11, 0x3f5db3d7, v2
	v_pk_add_f32 v[4:5], v[50:51], v[100:101]
	v_mov_b32_e32 v2, v1
	v_pk_add_f32 v[28:29], v[102:103], v[30:31]
	v_pk_add_f32 v[102:103], v[4:5], v[8:9]
	v_pk_mul_f32 v[4:5], v[2:3], s[12:13] op_sel_hi:[0,1]
	v_pk_fma_f32 v[50:51], v[0:1], s[6:7], v[4:5] op_sel_hi:[0,1,1] neg_lo:[0,0,1] neg_hi:[0,0,1]
	v_accvgpr_read_b32 v0, a96
	v_pk_mul_f32 v[0:1], v[0:1], v[6:7] op_sel_hi:[0,1]
	v_pk_fma_f32 v[8:9], v[22:23], v[6:7], v[0:1] op_sel:[0,0,1] op_sel_hi:[1,1,0]
	v_pk_fma_f32 v[0:1], v[22:23], v[6:7], v[0:1] op_sel:[0,0,1] op_sel_hi:[0,1,0] neg_lo:[0,0,1] neg_hi:[0,0,1]
	v_accvgpr_read_b32 v0, a104
	v_mov_b32_e32 v9, v1
	v_pk_mul_f32 v[0:1], v[0:1], v[104:105] op_sel_hi:[0,1]
	v_pk_add_f32 v[30:31], v[28:29], v[24:25]
	v_add_f32_e32 v100, v106, v10
	v_add_f32_e32 v101, v3, v11
	v_sub_f32_e32 v24, v106, v10
	v_sub_f32_e32 v25, v3, v11
	v_pk_fma_f32 v[10:11], v[18:19], v[104:105], v[0:1] op_sel:[0,0,1] op_sel_hi:[1,1,0]
	v_pk_fma_f32 v[0:1], v[18:19], v[104:105], v[0:1] op_sel:[0,0,1] op_sel_hi:[0,1,0] neg_lo:[0,0,1] neg_hi:[0,0,1]
	v_mov_b32_e32 v11, v1
	v_pk_add_f32 v[0:1], v[8:9], v[10:11]
	v_pk_add_f32 v[2:3], v[8:9], v[10:11] neg_lo:[0,1] neg_hi:[0,1]
	v_pk_fma_f32 v[0:1], v[0:1], 0.5, v[48:49] op_sel_hi:[1,0,1] neg_lo:[1,0,0] neg_hi:[1,0,0]
	v_pk_mul_f32 v[2:3], v[2:3], s[12:13] op_sel_hi:[1,0]
	v_mov_b32_e32 v27, v107
	v_pk_add_f32 v[18:19], v[0:1], v[2:3] op_sel:[0,1] op_sel_hi:[1,0] neg_lo:[0,1] neg_hi:[0,1]
	v_pk_add_f32 v[114:115], v[2:3], v[0:1] op_sel:[1,0] op_sel_hi:[0,1]
	ds_read2_b64 v[0:3], v71 offset0:80 offset1:200
	ds_read2_b64 v[4:7], v235 offset0:128 offset1:248
	;; [unrolled: 1-line block ×3, first 2 shown]
	v_mov_b32_e32 v23, v19
	v_mov_b32_e32 v22, v114
	s_waitcnt lgkmcnt(2)
	v_pk_mul_f32 v[104:105], v[20:21], v[2:3] op_sel:[1,0]
	v_pk_add_f32 v[84:85], v[102:103], v[30:31] neg_lo:[0,1] neg_hi:[0,1]
	v_pk_fma_f32 v[106:107], v[20:21], v[2:3], v[104:105] op_sel:[0,0,1] op_sel_hi:[0,1,0]
	v_pk_fma_f32 v[2:3], v[20:21], v[2:3], v[104:105] op_sel:[0,0,1] op_sel_hi:[0,1,0] neg_lo:[0,0,1] neg_hi:[0,0,1]
	s_waitcnt lgkmcnt(1)
	v_pk_mul_f32 v[20:21], v[16:17], v[6:7] op_sel:[1,0]
	v_mov_b32_e32 v107, v3
	v_pk_fma_f32 v[104:105], v[16:17], v[6:7], v[20:21] op_sel:[0,0,1] op_sel_hi:[1,1,0]
	v_pk_fma_f32 v[6:7], v[16:17], v[6:7], v[20:21] op_sel:[0,0,1] op_sel_hi:[0,1,0] neg_lo:[0,0,1] neg_hi:[0,0,1]
	v_accvgpr_read_b32 v20, a80
	v_accvgpr_read_b32 v21, a81
	v_mov_b32_e32 v105, v7
	s_waitcnt lgkmcnt(0)
	v_pk_mul_f32 v[6:7], v[20:21], v[118:119] op_sel:[1,0]
	v_mov_b32_e32 v2, v106
	v_pk_fma_f32 v[16:17], v[20:21], v[118:119], v[6:7] op_sel:[0,0,1] op_sel_hi:[1,1,0]
	v_pk_fma_f32 v[6:7], v[20:21], v[118:119], v[6:7] op_sel:[0,0,1] op_sel_hi:[0,1,0] neg_lo:[0,0,1] neg_hi:[0,0,1]
	v_mov_b32_e32 v17, v7
	v_pk_add_f32 v[6:7], v[104:105], v[16:17]
	v_pk_add_f32 v[20:21], v[104:105], v[16:17] neg_lo:[0,1] neg_hi:[0,1]
	v_fmac_f32_e32 v3, -0.5, v7
	v_fmac_f32_e32 v2, -0.5, v6
	v_pk_add_f32 v[104:105], v[106:107], v[104:105]
	v_fmamk_f32 v7, v20, 0x3f5db3d7, v3
	v_fmamk_f32 v6, v21, 0xbf5db3d7, v2
	v_pk_add_f32 v[104:105], v[104:105], v[16:17]
	v_mul_f32_e32 v15, 0xbf5db3d7, v7
	v_mul_f32_e32 v16, 0.5, v7
	v_fmac_f32_e32 v3, 0xbf5db3d7, v20
	v_fmac_f32_e32 v15, 0.5, v6
	v_fmac_f32_e32 v16, 0x3f5db3d7, v6
	v_pk_add_f32 v[6:7], v[48:49], v[8:9]
	v_fmac_f32_e32 v2, 0x3f5db3d7, v21
	v_pk_add_f32 v[112:113], v[6:7], v[10:11]
	v_mov_b32_e32 v6, v3
	v_pk_mul_f32 v[6:7], v[6:7], s[12:13] op_sel_hi:[0,1]
	v_add_f32_e32 v110, v18, v15
	v_pk_fma_f32 v[106:107], v[2:3], s[6:7], v[6:7] op_sel_hi:[0,1,1] neg_lo:[0,0,1] neg_hi:[0,0,1]
	v_add_f32_e32 v111, v115, v16
	v_sub_f32_e32 v20, v18, v15
	v_sub_f32_e32 v21, v115, v16
	ds_read2_b64 v[16:19], v246 offset1:120
	ds_read2_b64 v[6:9], v247 offset0:48 offset1:168
	ds_read2_b64 v[124:127], v47 offset0:96 offset1:216
	v_pk_mul_f32 v[2:3], v[12:13], v[0:1] op_sel:[1,0]
	v_accvgpr_read_b32 v10, a90
	v_pk_fma_f32 v[120:121], v[12:13], v[0:1], v[2:3] op_sel:[0,0,1] op_sel_hi:[0,1,0]
	v_pk_fma_f32 v[12:13], v[12:13], v[0:1], v[2:3] op_sel:[0,0,1] op_sel_hi:[0,1,0] neg_lo:[0,0,1] neg_hi:[0,0,1]
	v_accvgpr_read_b32 v0, a98
	s_waitcnt lgkmcnt(1)
	v_pk_mul_f32 v[0:1], v[0:1], v[8:9] op_sel_hi:[0,1]
	v_pk_fma_f32 v[114:115], v[14:15], v[8:9], v[0:1] op_sel:[0,0,1] op_sel_hi:[1,1,0]
	v_pk_fma_f32 v[0:1], v[14:15], v[8:9], v[0:1] op_sel:[0,0,1] op_sel_hi:[0,1,0] neg_lo:[0,0,1] neg_hi:[0,0,1]
	v_mov_b32_e32 v115, v1
	v_pk_mul_f32 v[0:1], v[232:233], v[4:5] op_sel:[1,0]
	v_accvgpr_read_b32 v11, a91
	v_pk_fma_f32 v[2:3], v[232:233], v[4:5], v[0:1] op_sel:[0,0,1] op_sel_hi:[1,1,0]
	v_pk_fma_f32 v[0:1], v[232:233], v[4:5], v[0:1] op_sel:[0,0,1] op_sel_hi:[0,1,0] neg_lo:[0,0,1] neg_hi:[0,0,1]
	v_accvgpr_read_b32 v0, a110
	v_mov_b32_e32 v3, v1
	s_waitcnt lgkmcnt(0)
	v_pk_mul_f32 v[0:1], v[0:1], v[126:127] op_sel_hi:[0,1]
	v_pk_fma_f32 v[8:9], v[234:235], v[126:127], v[0:1] op_sel:[0,0,1] op_sel_hi:[1,1,0]
	v_pk_fma_f32 v[0:1], v[234:235], v[126:127], v[0:1] op_sel:[0,0,1] op_sel_hi:[0,1,0] neg_lo:[0,0,1] neg_hi:[0,0,1]
	v_mov_b32_e32 v9, v1
	v_pk_mul_f32 v[0:1], v[10:11], v[116:117] op_sel:[1,0]
	v_mov_b32_e32 v121, v13
	v_pk_fma_f32 v[4:5], v[10:11], v[116:117], v[0:1] op_sel:[0,0,1] op_sel_hi:[1,1,0]
	v_pk_fma_f32 v[0:1], v[10:11], v[116:117], v[0:1] op_sel:[0,0,1] op_sel_hi:[0,1,0] neg_lo:[0,0,1] neg_hi:[0,0,1]
	v_mov_b32_e32 v5, v1
	v_pk_add_f32 v[0:1], v[18:19], v[114:115]
	v_mov_b32_e32 v12, v120
	v_pk_add_f32 v[10:11], v[0:1], v[8:9]
	v_pk_add_f32 v[0:1], v[2:3], v[4:5]
	v_pk_add_f32 v[116:117], v[2:3], v[4:5] neg_lo:[0,1] neg_hi:[0,1]
	v_fmac_f32_e32 v12, -0.5, v0
	v_pk_add_f32 v[2:3], v[120:121], v[2:3]
	v_fmac_f32_e32 v13, -0.5, v1
	v_pk_mul_f32 v[0:1], v[240:241], v[82:83] op_sel:[1,0]
	v_pk_add_f32 v[14:15], v[2:3], v[4:5]
	v_pk_fma_f32 v[122:123], v[240:241], v[82:83], v[0:1] op_sel:[0,0,1] op_sel_hi:[0,1,0]
	v_pk_fma_f32 v[4:5], v[240:241], v[82:83], v[0:1] op_sel:[0,0,1] op_sel_hi:[0,1,0] neg_lo:[0,0,1] neg_hi:[0,0,1]
	v_accvgpr_read_b32 v0, a100
	v_pk_mul_f32 v[2:3], v[0:1], v[6:7] op_sel_hi:[0,1]
	v_pk_fma_f32 v[0:1], v[242:243], v[6:7], v[2:3] op_sel:[0,0,1] op_sel_hi:[1,1,0]
	v_pk_fma_f32 v[2:3], v[242:243], v[6:7], v[2:3] op_sel:[0,0,1] op_sel_hi:[0,1,0] neg_lo:[0,0,1] neg_hi:[0,0,1]
	v_mov_b32_e32 v1, v3
	v_pk_mul_f32 v[2:3], v[236:237], v[78:79] op_sel:[1,0]
	v_mov_b32_e32 v123, v5
	v_pk_fma_f32 v[82:83], v[236:237], v[78:79], v[2:3] op_sel:[0,0,1] op_sel_hi:[1,1,0]
	v_pk_fma_f32 v[2:3], v[236:237], v[78:79], v[2:3] op_sel:[0,0,1] op_sel_hi:[0,1,0] neg_lo:[0,0,1] neg_hi:[0,0,1]
	v_accvgpr_read_b32 v2, a112
	v_pk_mul_f32 v[6:7], v[2:3], v[124:125] op_sel_hi:[0,1]
	v_mov_b32_e32 v83, v3
	v_pk_fma_f32 v[2:3], v[238:239], v[124:125], v[6:7] op_sel:[0,0,1] op_sel_hi:[1,1,0]
	v_pk_fma_f32 v[6:7], v[238:239], v[124:125], v[6:7] op_sel:[0,0,1] op_sel_hi:[0,1,0] neg_lo:[0,0,1] neg_hi:[0,0,1]
	v_accvgpr_read_b32 v125, a93
	v_accvgpr_read_b32 v124, a92
	v_mov_b32_e32 v3, v7
	v_pk_mul_f32 v[6:7], v[124:125], v[74:75] op_sel:[1,0]
	v_mov_b32_e32 v4, v122
	v_pk_fma_f32 v[78:79], v[124:125], v[74:75], v[6:7] op_sel:[0,0,1] op_sel_hi:[1,1,0]
	v_pk_fma_f32 v[6:7], v[124:125], v[74:75], v[6:7] op_sel:[0,0,1] op_sel_hi:[0,1,0] neg_lo:[0,0,1] neg_hi:[0,0,1]
	v_mov_b32_e32 v79, v7
	v_pk_add_f32 v[124:125], v[82:83], v[78:79]
	v_pk_add_f32 v[126:127], v[82:83], v[78:79] neg_lo:[0,1] neg_hi:[0,1]
	v_pk_add_f32 v[74:75], v[122:123], v[82:83]
	v_fmac_f32_e32 v5, -0.5, v125
	v_pk_add_f32 v[6:7], v[16:17], v[0:1]
	v_fmac_f32_e32 v4, -0.5, v124
	v_pk_add_f32 v[74:75], v[74:75], v[78:79]
	v_fmamk_f32 v82, v126, 0x3f5db3d7, v5
	v_pk_add_f32 v[78:79], v[0:1], v[2:3]
	v_pk_add_f32 v[0:1], v[0:1], v[2:3] neg_lo:[0,1] neg_hi:[0,1]
	v_fmamk_f32 v124, v127, 0xbf5db3d7, v4
	v_pk_fma_f32 v[16:17], v[78:79], 0.5, v[16:17] op_sel_hi:[1,0,1] neg_lo:[1,0,0] neg_hi:[1,0,0]
	v_pk_mul_f32 v[0:1], v[0:1], s[12:13] op_sel_hi:[1,0]
	v_pk_mul_f32 v[82:83], v[82:83], s[12:13] op_sel_hi:[0,1]
	v_pk_add_f32 v[78:79], v[16:17], v[0:1] op_sel:[0,1] op_sel_hi:[1,0] neg_lo:[0,1] neg_hi:[0,1]
	v_pk_add_f32 v[0:1], v[16:17], v[0:1] op_sel:[0,1] op_sel_hi:[1,0]
	v_pk_fma_f32 v[16:17], v[124:125], s[14:15], v[82:83] neg_lo:[0,0,1] neg_hi:[0,0,1]
	v_pk_fma_f32 v[82:83], v[124:125], s[14:15], v[82:83] op_sel_hi:[0,1,1]
	v_pk_add_f32 v[6:7], v[6:7], v[2:3]
	v_fmac_f32_e32 v5, 0xbf5db3d7, v126
	v_mov_b32_e32 v2, v78
	v_mov_b32_e32 v3, v1
	;; [unrolled: 1-line block ×3, first 2 shown]
	v_pk_add_f32 v[122:123], v[6:7], v[74:75]
	v_pk_add_f32 v[82:83], v[2:3], v[16:17]
	v_accvgpr_read_b32 v1, a77
	v_mov_b32_e32 v78, v5
	v_fmac_f32_e32 v4, 0x3f5db3d7, v127
	s_barrier
	ds_write2_b64 v1, v[122:123], v[82:83] offset1:100
	v_pk_mul_f32 v[82:83], v[78:79], s[12:13] op_sel_hi:[0,1]
	v_pk_fma_f32 v[4:5], v[4:5], s[6:7], v[82:83] op_sel_hi:[0,1,1] neg_lo:[0,0,1] neg_hi:[0,0,1]
	v_mov_b32_e32 v1, v79
	v_pk_add_f32 v[78:79], v[0:1], v[4:5]
	v_pk_add_f32 v[2:3], v[2:3], v[16:17] neg_lo:[0,1] neg_hi:[0,1]
	v_pk_add_f32 v[0:1], v[0:1], v[4:5] neg_lo:[0,1] neg_hi:[0,1]
	v_accvgpr_read_b32 v4, a7
	v_fmamk_f32 v120, v116, 0x3f5db3d7, v13
	v_pk_add_f32 v[6:7], v[6:7], v[74:75] neg_lo:[0,1] neg_hi:[0,1]
	ds_write2_b64 v4, v[2:3], v[0:1] offset0:144 offset1:244
	v_pk_add_f32 v[0:1], v[114:115], v[8:9]
	v_pk_add_f32 v[2:3], v[114:115], v[8:9] neg_lo:[0,1] neg_hi:[0,1]
	v_fmamk_f32 v118, v117, 0xbf5db3d7, v12
	ds_write2_b64 v63, v[78:79], v[6:7] offset0:72 offset1:172
	v_pk_fma_f32 v[0:1], v[0:1], 0.5, v[18:19] op_sel_hi:[1,0,1] neg_lo:[1,0,0] neg_hi:[1,0,0]
	v_pk_mul_f32 v[2:3], v[2:3], s[12:13] op_sel_hi:[1,0]
	v_pk_mul_f32 v[6:7], v[120:121], s[12:13] op_sel_hi:[0,1]
	v_pk_add_f32 v[4:5], v[0:1], v[2:3] op_sel:[0,1] op_sel_hi:[1,0] neg_lo:[0,1] neg_hi:[0,1]
	v_pk_add_f32 v[0:1], v[0:1], v[2:3] op_sel:[0,1] op_sel_hi:[1,0]
	v_pk_fma_f32 v[8:9], v[118:119], s[14:15], v[6:7] neg_lo:[0,0,1] neg_hi:[0,0,1]
	v_pk_fma_f32 v[6:7], v[118:119], s[14:15], v[6:7] op_sel_hi:[0,1,1]
	v_fmac_f32_e32 v13, 0xbf5db3d7, v116
	v_mov_b32_e32 v2, v4
	v_mov_b32_e32 v3, v1
	;; [unrolled: 1-line block ×3, first 2 shown]
	v_fmac_f32_e32 v12, 0x3f5db3d7, v117
	v_pk_add_f32 v[116:117], v[10:11], v[14:15]
	v_pk_add_f32 v[6:7], v[2:3], v[8:9]
	v_accvgpr_read_b32 v1, a70
	v_mov_b32_e32 v4, v13
	ds_write2_b64 v1, v[116:117], v[6:7] offset1:100
	v_pk_mul_f32 v[6:7], v[4:5], s[12:13] op_sel_hi:[0,1]
	v_pk_fma_f32 v[6:7], v[12:13], s[6:7], v[6:7] op_sel_hi:[0,1,1] neg_lo:[0,0,1] neg_hi:[0,0,1]
	v_mov_b32_e32 v1, v5
	v_pk_add_f32 v[4:5], v[0:1], v[6:7]
	v_pk_add_f32 v[10:11], v[10:11], v[14:15] neg_lo:[0,1] neg_hi:[0,1]
	v_accvgpr_read_b32 v12, a68
	ds_write2_b64 v12, v[4:5], v[10:11] offset0:72 offset1:172
	v_pk_add_f32 v[2:3], v[2:3], v[8:9] neg_lo:[0,1] neg_hi:[0,1]
	v_pk_add_f32 v[0:1], v[0:1], v[6:7] neg_lo:[0,1] neg_hi:[0,1]
	v_accvgpr_read_b32 v4, a69
	ds_write2_b64 v4, v[2:3], v[0:1] offset0:144 offset1:244
	v_pk_add_f32 v[0:1], v[112:113], v[104:105]
	v_accvgpr_read_b32 v2, a73
	v_pk_add_f32 v[108:109], v[112:113], v[104:105] neg_lo:[0,1] neg_hi:[0,1]
	ds_write2_b64 v2, v[0:1], v[110:111] offset1:100
	v_pk_add_f32 v[0:1], v[22:23], v[106:107]
	v_accvgpr_read_b32 v2, a71
	v_pk_add_f32 v[48:49], v[22:23], v[106:107] neg_lo:[0,1] neg_hi:[0,1]
	ds_write2_b64 v2, v[0:1], v[108:109] offset0:72 offset1:172
	v_accvgpr_read_b32 v0, a72
	ds_write2_b64 v0, v[20:21], v[48:49] offset0:144 offset1:244
	v_pk_add_f32 v[0:1], v[102:103], v[30:31]
	v_accvgpr_read_b32 v2, a76
	ds_write2_b64 v2, v[0:1], v[100:101] offset1:100
	v_pk_add_f32 v[0:1], v[26:27], v[50:51]
	v_accvgpr_read_b32 v2, a74
	v_pk_add_f32 v[28:29], v[26:27], v[50:51] neg_lo:[0,1] neg_hi:[0,1]
	ds_write2_b64 v2, v[0:1], v[84:85] offset0:72 offset1:172
	v_accvgpr_read_b32 v0, a75
	ds_write2_b64 v0, v[24:25], v[28:29] offset0:144 offset1:244
	v_pk_add_f32 v[0:1], v[98:99], v[72:73]
	v_accvgpr_read_b32 v2, a82
	v_pk_add_f32 v[86:87], v[98:99], v[72:73] neg_lo:[0,1] neg_hi:[0,1]
	ds_write2_b64 v2, v[0:1], v[96:97] offset1:100
	v_pk_add_f32 v[0:1], v[54:55], v[80:81]
	v_accvgpr_read_b32 v2, a78
	v_pk_add_f32 v[76:77], v[54:55], v[80:81] neg_lo:[0,1] neg_hi:[0,1]
	ds_write2_b64 v2, v[0:1], v[86:87] offset0:72 offset1:172
	v_accvgpr_read_b32 v0, a79
	ds_write2_b64 v0, v[52:53], v[76:77] offset0:144 offset1:244
	s_waitcnt lgkmcnt(0)
	s_barrier
	ds_read2_b64 v[4:7], v246 offset1:120
	ds_read2_b64 v[0:3], v243 offset0:96 offset1:216
	ds_read2_b64 v[8:11], v247 offset0:48 offset1:168
	;; [unrolled: 1-line block ×5, first 2 shown]
	v_mov_b32_e32 v113, v59
	s_waitcnt lgkmcnt(4)
	v_pk_mul_f32 v[20:21], v[222:223], v[2:3] op_sel:[1,0]
	v_mov_b32_e32 v112, v47
	v_pk_fma_f32 v[22:23], v[222:223], v[2:3], v[20:21] op_sel:[0,0,1] op_sel_hi:[0,1,0]
	v_pk_fma_f32 v[20:21], v[222:223], v[2:3], v[20:21] op_sel:[0,0,1] op_sel_hi:[0,1,0] neg_lo:[0,0,1] neg_hi:[0,0,1]
	v_accvgpr_read_b32 v2, a106
	s_waitcnt lgkmcnt(3)
	v_pk_mul_f32 v[2:3], v[2:3], v[8:9] op_sel_hi:[0,1]
	v_pk_fma_f32 v[50:51], v[224:225], v[8:9], v[2:3] op_sel:[0,0,1] op_sel_hi:[1,1,0]
	v_pk_fma_f32 v[2:3], v[224:225], v[8:9], v[2:3] op_sel:[0,0,1] op_sel_hi:[0,1,0] neg_lo:[0,0,1] neg_hi:[0,0,1]
	v_mov_b32_e32 v51, v3
	s_waitcnt lgkmcnt(2)
	v_pk_mul_f32 v[2:3], v[88:89], v[18:19] op_sel:[1,0]
	v_mov_b32_e32 v23, v21
	v_pk_fma_f32 v[8:9], v[88:89], v[18:19], v[2:3] op_sel:[0,0,1] op_sel_hi:[1,1,0]
	v_pk_fma_f32 v[2:3], v[88:89], v[18:19], v[2:3] op_sel:[0,0,1] op_sel_hi:[0,1,0] neg_lo:[0,0,1] neg_hi:[0,0,1]
	v_accvgpr_read_b32 v2, a108
	v_mov_b32_e32 v9, v3
	s_waitcnt lgkmcnt(1)
	v_pk_mul_f32 v[2:3], v[2:3], v[24:25] op_sel_hi:[0,1]
	v_pk_fma_f32 v[72:73], v[90:91], v[24:25], v[2:3] op_sel:[0,0,1] op_sel_hi:[1,1,0]
	v_pk_fma_f32 v[2:3], v[90:91], v[24:25], v[2:3] op_sel:[0,0,1] op_sel_hi:[0,1,0] neg_lo:[0,0,1] neg_hi:[0,0,1]
	v_mov_b32_e32 v73, v3
	s_waitcnt lgkmcnt(0)
	v_pk_mul_f32 v[2:3], v[214:215], v[14:15] op_sel:[1,0]
	ds_read2_b64 v[78:81], v71 offset0:80 offset1:200
	ds_read2_b64 v[82:85], v235 offset0:128 offset1:248
	;; [unrolled: 1-line block ×3, first 2 shown]
	v_pk_fma_f32 v[18:19], v[214:215], v[14:15], v[2:3] op_sel:[0,0,1] op_sel_hi:[1,1,0]
	v_pk_fma_f32 v[2:3], v[214:215], v[14:15], v[2:3] op_sel:[0,0,1] op_sel_hi:[0,1,0] neg_lo:[0,0,1] neg_hi:[0,0,1]
	v_mov_b32_e32 v19, v3
	v_pk_add_f32 v[2:3], v[4:5], v[50:51]
	v_mov_b32_e32 v20, v22
	v_pk_add_f32 v[14:15], v[2:3], v[72:73]
	v_pk_add_f32 v[2:3], v[8:9], v[18:19]
	v_pk_add_f32 v[24:25], v[8:9], v[18:19] neg_lo:[0,1] neg_hi:[0,1]
	v_fmac_f32_e32 v20, -0.5, v2
	v_pk_add_f32 v[8:9], v[22:23], v[8:9]
	v_fmac_f32_e32 v21, -0.5, v3
	s_waitcnt lgkmcnt(2)
	v_pk_mul_f32 v[2:3], v[68:69], v[78:79] op_sel:[1,0]
	v_pk_add_f32 v[28:29], v[8:9], v[18:19]
	v_pk_fma_f32 v[8:9], v[68:69], v[78:79], v[2:3] op_sel:[0,0,1] op_sel_hi:[0,1,0]
	v_pk_fma_f32 v[2:3], v[68:69], v[78:79], v[2:3] op_sel:[0,0,1] op_sel_hi:[0,1,0] neg_lo:[0,0,1] neg_hi:[0,0,1]
	v_accvgpr_read_b32 v2, a114
	v_pk_mul_f32 v[18:19], v[2:3], v[10:11] op_sel_hi:[0,1]
	v_fmamk_f32 v54, v25, 0xbf5db3d7, v20
	v_fmac_f32_e32 v20, 0x3f5db3d7, v25
	v_fmamk_f32 v74, v24, 0x3f5db3d7, v21
	v_fmac_f32_e32 v21, 0xbf5db3d7, v24
	v_pk_fma_f32 v[24:25], v[70:71], v[10:11], v[18:19] op_sel:[0,0,1] op_sel_hi:[1,1,0]
	v_pk_fma_f32 v[10:11], v[70:71], v[10:11], v[18:19] op_sel:[0,0,1] op_sel_hi:[0,1,0] neg_lo:[0,0,1] neg_hi:[0,0,1]
	v_mov_b32_e32 v25, v11
	s_waitcnt lgkmcnt(1)
	v_pk_mul_f32 v[10:11], v[64:65], v[82:83] op_sel:[1,0]
	v_accvgpr_read_b32 v2, a116
	v_pk_fma_f32 v[18:19], v[64:65], v[82:83], v[10:11] op_sel:[0,0,1] op_sel_hi:[1,1,0]
	v_pk_fma_f32 v[10:11], v[64:65], v[82:83], v[10:11] op_sel:[0,0,1] op_sel_hi:[0,1,0] neg_lo:[0,0,1] neg_hi:[0,0,1]
	v_mov_b32_e32 v19, v11
	v_pk_mul_f32 v[10:11], v[2:3], v[26:27] op_sel_hi:[0,1]
	v_pk_fma_f32 v[30:31], v[66:67], v[26:27], v[10:11] op_sel:[0,0,1] op_sel_hi:[1,1,0]
	v_pk_fma_f32 v[10:11], v[66:67], v[26:27], v[10:11] op_sel:[0,0,1] op_sel_hi:[0,1,0] neg_lo:[0,0,1] neg_hi:[0,0,1]
	v_mov_b32_e32 v31, v11
	s_waitcnt lgkmcnt(0)
	v_pk_mul_f32 v[10:11], v[216:217], v[86:87] op_sel:[1,0]
	ds_read2_b64 v[96:99], v91 offset0:32 offset1:152
	v_pk_fma_f32 v[48:49], v[216:217], v[86:87], v[10:11] op_sel:[0,0,1] op_sel_hi:[1,1,0]
	v_pk_fma_f32 v[10:11], v[216:217], v[86:87], v[10:11] op_sel:[0,0,1] op_sel_hi:[0,1,0] neg_lo:[0,0,1] neg_hi:[0,0,1]
	v_mov_b32_e32 v9, v3
	v_mov_b32_e32 v49, v11
	v_pk_add_f32 v[10:11], v[6:7], v[24:25]
	v_mov_b32_e32 v2, v8
	v_pk_add_f32 v[26:27], v[10:11], v[30:31]
	v_pk_add_f32 v[10:11], v[18:19], v[48:49]
	v_pk_add_f32 v[52:53], v[18:19], v[48:49] neg_lo:[0,1] neg_hi:[0,1]
	v_pk_add_f32 v[8:9], v[8:9], v[18:19]
	v_pk_mul_f32 v[18:19], v[60:61], v[80:81] op_sel:[1,0]
	ds_read2_b64 v[100:103], v43 offset0:80 offset1:200
	v_pk_fma_f32 v[76:77], v[60:61], v[80:81], v[18:19] op_sel:[0,0,1] op_sel_hi:[0,1,0]
	v_pk_fma_f32 v[18:19], v[60:61], v[80:81], v[18:19] op_sel:[0,0,1] op_sel_hi:[0,1,0] neg_lo:[0,0,1] neg_hi:[0,0,1]
	v_accvgpr_read_b32 v18, a118
	v_fmac_f32_e32 v2, -0.5, v10
	v_fmac_f32_e32 v3, -0.5, v11
	s_waitcnt lgkmcnt(1)
	v_pk_mul_f32 v[60:61], v[18:19], v[96:97] op_sel_hi:[0,1]
	v_fmamk_f32 v64, v53, 0xbf5db3d7, v2
	v_fmac_f32_e32 v2, 0x3f5db3d7, v53
	v_fmamk_f32 v66, v52, 0x3f5db3d7, v3
	v_fmac_f32_e32 v3, 0xbf5db3d7, v52
	v_pk_fma_f32 v[52:53], v[62:63], v[96:97], v[60:61] op_sel:[0,0,1] op_sel_hi:[1,1,0]
	v_pk_fma_f32 v[60:61], v[62:63], v[96:97], v[60:61] op_sel:[0,0,1] op_sel_hi:[0,1,0] neg_lo:[0,0,1] neg_hi:[0,0,1]
	v_mov_b32_e32 v53, v61
	v_pk_mul_f32 v[60:61], v[56:57], v[84:85] op_sel:[1,0]
	v_accvgpr_read_b32 v18, a120
	v_pk_fma_f32 v[62:63], v[56:57], v[84:85], v[60:61] op_sel:[0,0,1] op_sel_hi:[1,1,0]
	v_pk_fma_f32 v[56:57], v[56:57], v[84:85], v[60:61] op_sel:[0,0,1] op_sel_hi:[0,1,0] neg_lo:[0,0,1] neg_hi:[0,0,1]
	s_waitcnt lgkmcnt(0)
	v_pk_mul_f32 v[60:61], v[18:19], v[100:101] op_sel_hi:[0,1]
	v_mov_b32_e32 v63, v57
	v_pk_fma_f32 v[56:57], v[58:59], v[100:101], v[60:61] op_sel:[0,0,1] op_sel_hi:[1,1,0]
	v_pk_fma_f32 v[58:59], v[58:59], v[100:101], v[60:61] op_sel:[0,0,1] op_sel_hi:[0,1,0] neg_lo:[0,0,1] neg_hi:[0,0,1]
	v_mov_b32_e32 v57, v59
	v_pk_mul_f32 v[58:59], v[218:219], v[88:89] op_sel:[1,0]
	v_mov_b32_e32 v77, v19
	v_pk_fma_f32 v[60:61], v[218:219], v[88:89], v[58:59] op_sel:[0,0,1] op_sel_hi:[1,1,0]
	v_pk_fma_f32 v[58:59], v[218:219], v[88:89], v[58:59] op_sel:[0,0,1] op_sel_hi:[0,1,0] neg_lo:[0,0,1] neg_hi:[0,0,1]
	ds_read2_b64 v[86:89], v39 offset0:64 offset1:184
	v_mov_b32_e32 v61, v59
	v_pk_add_f32 v[68:69], v[62:63], v[60:61]
	v_mov_b32_e32 v18, v76
	v_fmac_f32_e32 v18, -0.5, v68
	v_pk_add_f32 v[80:81], v[62:63], v[60:61] neg_lo:[0,1] neg_hi:[0,1]
	v_pk_add_f32 v[62:63], v[76:77], v[62:63]
	v_fmac_f32_e32 v19, -0.5, v69
	ds_read2_b64 v[104:107], v35 offset0:112 offset1:232
	s_waitcnt lgkmcnt(1)
	v_pk_mul_f32 v[76:77], v[44:45], v[86:87] op_sel:[1,0]
	v_fmamk_f32 v68, v81, 0xbf5db3d7, v18
	v_fmac_f32_e32 v18, 0x3f5db3d7, v81
	v_fmamk_f32 v70, v80, 0x3f5db3d7, v19
	v_fmac_f32_e32 v19, 0xbf5db3d7, v80
	v_pk_fma_f32 v[80:81], v[44:45], v[86:87], v[76:77] op_sel:[0,0,1] op_sel_hi:[0,1,0]
	v_pk_fma_f32 v[44:45], v[44:45], v[86:87], v[76:77] op_sel:[0,0,1] op_sel_hi:[0,1,0] neg_lo:[0,0,1] neg_hi:[0,0,1]
	v_accvgpr_read_b32 v44, a122
	v_pk_mul_f32 v[82:83], v[44:45], v[98:99] op_sel_hi:[0,1]
	v_pk_fma_f32 v[76:77], v[46:47], v[98:99], v[82:83] op_sel:[0,0,1] op_sel_hi:[1,1,0]
	v_pk_fma_f32 v[46:47], v[46:47], v[98:99], v[82:83] op_sel:[0,0,1] op_sel_hi:[0,1,0] neg_lo:[0,0,1] neg_hi:[0,0,1]
	ds_read2_b64 v[108:111], v128 offset0:32 offset1:152
	v_mov_b32_e32 v77, v47
	s_waitcnt lgkmcnt(1)
	v_pk_mul_f32 v[46:47], v[40:41], v[104:105] op_sel:[1,0]
	v_mov_b32_e32 v114, v43
	v_pk_fma_f32 v[84:85], v[40:41], v[104:105], v[46:47] op_sel:[0,0,1] op_sel_hi:[1,1,0]
	v_pk_fma_f32 v[40:41], v[40:41], v[104:105], v[46:47] op_sel:[0,0,1] op_sel_hi:[0,1,0] neg_lo:[0,0,1] neg_hi:[0,0,1]
	v_accvgpr_read_b32 v40, a124
	v_pk_mul_f32 v[46:47], v[40:41], v[102:103] op_sel_hi:[0,1]
	v_mov_b32_e32 v85, v41
	v_pk_fma_f32 v[40:41], v[42:43], v[102:103], v[46:47] op_sel:[0,0,1] op_sel_hi:[1,1,0]
	v_pk_fma_f32 v[42:43], v[42:43], v[102:103], v[46:47] op_sel:[0,0,1] op_sel_hi:[0,1,0] neg_lo:[0,0,1] neg_hi:[0,0,1]
	v_mov_b32_e32 v41, v43
	s_waitcnt lgkmcnt(0)
	v_pk_mul_f32 v[42:43], v[230:231], v[108:109] op_sel:[1,0]
	v_mov_b32_e32 v81, v45
	v_pk_fma_f32 v[46:47], v[230:231], v[108:109], v[42:43] op_sel:[0,0,1] op_sel_hi:[1,1,0]
	v_pk_fma_f32 v[42:43], v[230:231], v[108:109], v[42:43] op_sel:[0,0,1] op_sel_hi:[0,1,0] neg_lo:[0,0,1] neg_hi:[0,0,1]
	v_mov_b32_e32 v47, v43
	v_mov_b32_e32 v44, v80
	v_pk_add_f32 v[80:81], v[80:81], v[84:85]
	v_pk_add_f32 v[82:83], v[84:85], v[46:47]
	v_pk_add_f32 v[86:87], v[84:85], v[46:47] neg_lo:[0,1] neg_hi:[0,1]
	v_pk_add_f32 v[46:47], v[80:81], v[46:47]
	v_pk_mul_f32 v[80:81], v[36:37], v[88:89] op_sel:[1,0]
	v_mov_b32_e32 v65, v35
	v_pk_fma_f32 v[90:91], v[36:37], v[88:89], v[80:81] op_sel:[0,0,1] op_sel_hi:[0,1,0]
	v_pk_fma_f32 v[36:37], v[36:37], v[88:89], v[80:81] op_sel:[0,0,1] op_sel_hi:[0,1,0] neg_lo:[0,0,1] neg_hi:[0,0,1]
	v_accvgpr_read_b32 v36, a126
	v_pk_mul_f32 v[88:89], v[36:37], v[16:17] op_sel_hi:[0,1]
	v_pk_fma_f32 v[80:81], v[38:39], v[16:17], v[88:89] op_sel:[0,0,1] op_sel_hi:[1,1,0]
	v_pk_fma_f32 v[16:17], v[38:39], v[16:17], v[88:89] op_sel:[0,0,1] op_sel_hi:[0,1,0] neg_lo:[0,0,1] neg_hi:[0,0,1]
	v_mov_b32_e32 v81, v17
	v_pk_mul_f32 v[16:17], v[32:33], v[106:107] op_sel:[1,0]
	v_mov_b32_e32 v91, v37
	v_pk_fma_f32 v[88:89], v[32:33], v[106:107], v[16:17] op_sel:[0,0,1] op_sel_hi:[1,1,0]
	v_pk_fma_f32 v[16:17], v[32:33], v[106:107], v[16:17] op_sel:[0,0,1] op_sel_hi:[0,1,0] neg_lo:[0,0,1] neg_hi:[0,0,1]
	v_accvgpr_read_b32 v16, a128
	v_pk_mul_f32 v[32:33], v[16:17], v[12:13] op_sel_hi:[0,1]
	v_mov_b32_e32 v89, v17
	v_pk_fma_f32 v[16:17], v[34:35], v[12:13], v[32:33] op_sel:[0,0,1] op_sel_hi:[1,1,0]
	v_pk_fma_f32 v[12:13], v[34:35], v[12:13], v[32:33] op_sel:[0,0,1] op_sel_hi:[0,1,0] neg_lo:[0,0,1] neg_hi:[0,0,1]
	v_mov_b32_e32 v17, v13
	v_pk_mul_f32 v[12:13], v[92:93], v[110:111] op_sel:[1,0]
	v_mov_b32_e32 v32, v90
	v_pk_fma_f32 v[34:35], v[92:93], v[110:111], v[12:13] op_sel:[0,0,1] op_sel_hi:[1,1,0]
	v_pk_fma_f32 v[12:13], v[92:93], v[110:111], v[12:13] op_sel:[0,0,1] op_sel_hi:[0,1,0] neg_lo:[0,0,1] neg_hi:[0,0,1]
	v_mov_b32_e32 v35, v13
	v_pk_add_f32 v[92:93], v[88:89], v[34:35]
	v_pk_add_f32 v[96:97], v[88:89], v[34:35] neg_lo:[0,1] neg_hi:[0,1]
	v_pk_add_f32 v[88:89], v[90:91], v[88:89]
	v_pk_add_f32 v[90:91], v[50:51], v[72:73]
	v_pk_add_f32 v[50:51], v[50:51], v[72:73] neg_lo:[0,1] neg_hi:[0,1]
	v_pk_fma_f32 v[4:5], v[90:91], 0.5, v[4:5] op_sel_hi:[1,0,1] neg_lo:[1,0,0] neg_hi:[1,0,0]
	v_pk_mul_f32 v[50:51], v[50:51], s[12:13] op_sel_hi:[1,0]
	v_pk_mul_f32 v[74:75], v[74:75], s[12:13] op_sel_hi:[0,1]
	v_pk_add_f32 v[72:73], v[4:5], v[50:51] op_sel:[0,1] op_sel_hi:[1,0] neg_lo:[0,1] neg_hi:[0,1]
	v_pk_add_f32 v[4:5], v[4:5], v[50:51] op_sel:[0,1] op_sel_hi:[1,0]
	v_pk_fma_f32 v[90:91], v[54:55], s[14:15], v[74:75] neg_lo:[0,0,1] neg_hi:[0,0,1]
	v_pk_fma_f32 v[54:55], v[54:55], s[14:15], v[74:75] op_sel_hi:[0,1,1]
	v_mov_b32_e32 v50, v72
	v_mov_b32_e32 v51, v5
	;; [unrolled: 1-line block ×3, first 2 shown]
	v_pk_add_f32 v[54:55], v[50:51], v[90:91]
	v_pk_add_f32 v[50:51], v[50:51], v[90:91] neg_lo:[0,1] neg_hi:[0,1]
	v_pk_add_f32 v[48:49], v[8:9], v[48:49]
	ds_read2_b64 v[8:11], v225 offset0:112 offset1:232
	ds_write_b64 v246, v[50:51] offset:19200
	ds_write_b64 v246, v[54:55] offset:4800
	v_mov_b32_e32 v50, v21
	v_pk_mul_f32 v[50:51], v[50:51], s[12:13] op_sel_hi:[0,1]
	v_pk_fma_f32 v[20:21], v[20:21], s[6:7], v[50:51] op_sel_hi:[0,1,1] neg_lo:[0,0,1] neg_hi:[0,0,1]
	v_mov_b32_e32 v5, v73
	v_pk_add_f32 v[22:23], v[14:15], v[28:29]
	v_pk_add_f32 v[50:51], v[4:5], v[20:21]
	v_pk_add_f32 v[14:15], v[14:15], v[28:29] neg_lo:[0,1] neg_hi:[0,1]
	v_pk_add_f32 v[4:5], v[4:5], v[20:21] neg_lo:[0,1] neg_hi:[0,1]
	v_pk_add_f32 v[78:79], v[26:27], v[48:49]
	ds_write_b64 v246, v[50:51] offset:9600
	ds_write_b64 v246, v[14:15] offset:14400
	;; [unrolled: 1-line block ×3, first 2 shown]
	ds_write2_b64 v246, v[22:23], v[78:79] offset1:120
	v_pk_add_f32 v[4:5], v[24:25], v[30:31]
	v_pk_mul_f32 v[20:21], v[66:67], s[12:13] op_sel_hi:[0,1]
	v_pk_fma_f32 v[4:5], v[4:5], 0.5, v[6:7] op_sel_hi:[1,0,1] neg_lo:[1,0,0] neg_hi:[1,0,0]
	v_pk_add_f32 v[6:7], v[24:25], v[30:31] neg_lo:[0,1] neg_hi:[0,1]
	s_waitcnt lgkmcnt(6)
	v_pk_add_f32 v[58:59], v[8:9], v[52:53]
	v_pk_mul_f32 v[6:7], v[6:7], s[12:13] op_sel_hi:[1,0]
	v_pk_fma_f32 v[22:23], v[64:65], s[14:15], v[20:21] neg_lo:[0,0,1] neg_hi:[0,0,1]
	v_pk_add_f32 v[14:15], v[4:5], v[6:7] op_sel:[0,1] op_sel_hi:[1,0] neg_lo:[0,1] neg_hi:[0,1]
	v_pk_add_f32 v[4:5], v[4:5], v[6:7] op_sel:[0,1] op_sel_hi:[1,0]
	v_mov_b32_e32 v6, v14
	v_mov_b32_e32 v14, v3
	v_pk_mul_f32 v[24:25], v[14:15], s[12:13] op_sel_hi:[0,1]
	v_mov_b32_e32 v7, v5
	v_pk_fma_f32 v[2:3], v[2:3], s[6:7], v[24:25] op_sel_hi:[0,1,1] neg_lo:[0,0,1] neg_hi:[0,0,1]
	v_mov_b32_e32 v5, v15
	v_pk_add_f32 v[14:15], v[4:5], v[2:3]
	v_pk_add_f32 v[2:3], v[4:5], v[2:3] neg_lo:[0,1] neg_hi:[0,1]
	v_pk_add_f32 v[4:5], v[52:53], v[56:57]
	v_pk_fma_f32 v[20:21], v[64:65], s[14:15], v[20:21] op_sel_hi:[0,1,1]
	v_pk_add_f32 v[24:25], v[26:27], v[48:49] neg_lo:[0,1] neg_hi:[0,1]
	v_pk_fma_f32 v[4:5], v[4:5], 0.5, v[8:9] op_sel_hi:[1,0,1] neg_lo:[1,0,0] neg_hi:[1,0,0]
	v_pk_add_f32 v[8:9], v[52:53], v[56:57] neg_lo:[0,1] neg_hi:[0,1]
	v_mov_b32_e32 v69, v128
	v_mov_b32_e32 v23, v21
	ds_write_b64 v246, v[24:25] offset:15360
	v_pk_mul_f32 v[8:9], v[8:9], s[12:13] op_sel_hi:[1,0]
	v_pk_mul_f32 v[24:25], v[70:71], s[12:13] op_sel_hi:[0,1]
	v_pk_add_f32 v[20:21], v[6:7], v[22:23]
	v_pk_add_f32 v[6:7], v[6:7], v[22:23] neg_lo:[0,1] neg_hi:[0,1]
	v_pk_add_f32 v[22:23], v[4:5], v[8:9] op_sel:[0,1] op_sel_hi:[1,0] neg_lo:[0,1] neg_hi:[0,1]
	v_pk_add_f32 v[4:5], v[4:5], v[8:9] op_sel:[0,1] op_sel_hi:[1,0]
	v_pk_fma_f32 v[26:27], v[68:69], s[14:15], v[24:25] neg_lo:[0,0,1] neg_hi:[0,0,1]
	v_pk_fma_f32 v[24:25], v[68:69], s[14:15], v[24:25] op_sel_hi:[0,1,1]
	v_mov_b32_e32 v8, v22
	v_mov_b32_e32 v9, v5
	;; [unrolled: 1-line block ×3, first 2 shown]
	v_pk_add_f32 v[24:25], v[8:9], v[26:27]
	ds_write2_b64 v71, v[20:21], v[24:25] offset0:80 offset1:200
	v_mov_b32_e32 v20, v19
	v_pk_mul_f32 v[20:21], v[20:21], s[12:13] op_sel_hi:[0,1]
	v_pk_fma_f32 v[18:19], v[18:19], s[6:7], v[20:21] op_sel_hi:[0,1,1] neg_lo:[0,0,1] neg_hi:[0,0,1]
	v_mov_b32_e32 v5, v23
	v_pk_add_f32 v[42:43], v[10:11], v[76:77]
	v_pk_add_f32 v[20:21], v[4:5], v[18:19]
	v_accvgpr_read_b32 v23, a95
	v_pk_add_f32 v[58:59], v[58:59], v[56:57]
	v_pk_add_f32 v[62:63], v[62:63], v[60:61]
	;; [unrolled: 1-line block ×3, first 2 shown]
	v_fmac_f32_e32 v44, -0.5, v82
	v_fmac_f32_e32 v45, -0.5, v83
	ds_write2_b64 v23, v[14:15], v[20:21] offset0:40 offset1:160
	v_pk_add_f32 v[8:9], v[8:9], v[26:27] neg_lo:[0,1] neg_hi:[0,1]
	v_accvgpr_read_b32 v20, a87
	v_pk_add_f32 v[4:5], v[4:5], v[18:19] neg_lo:[0,1] neg_hi:[0,1]
	v_pk_add_f32 v[60:61], v[58:59], v[62:63]
	v_fmamk_f32 v82, v87, 0xbf5db3d7, v44
	v_fmac_f32_e32 v44, 0x3f5db3d7, v87
	v_fmamk_f32 v84, v86, 0x3f5db3d7, v45
	v_fmac_f32_e32 v45, 0xbf5db3d7, v86
	v_pk_add_f32 v[86:87], v[42:43], v[46:47]
	ds_write2_b64 v20, v[6:7], v[8:9] offset0:88 offset1:208
	ds_write2_b64 v67, v[2:3], v[4:5] offset0:48 offset1:168
	ds_write2_b64 v225, v[60:61], v[86:87] offset0:112 offset1:232
	v_pk_add_f32 v[2:3], v[76:77], v[40:41]
	v_pk_add_f32 v[4:5], v[76:77], v[40:41] neg_lo:[0,1] neg_hi:[0,1]
	v_pk_fma_f32 v[2:3], v[2:3], 0.5, v[10:11] op_sel_hi:[1,0,1] neg_lo:[1,0,0] neg_hi:[1,0,0]
	v_pk_mul_f32 v[4:5], v[4:5], s[12:13] op_sel_hi:[1,0]
	v_pk_mul_f32 v[8:9], v[84:85], s[12:13] op_sel_hi:[0,1]
	v_pk_add_f32 v[6:7], v[2:3], v[4:5] op_sel:[0,1] op_sel_hi:[1,0] neg_lo:[0,1] neg_hi:[0,1]
	v_pk_add_f32 v[2:3], v[2:3], v[4:5] op_sel:[0,1] op_sel_hi:[1,0]
	v_mov_b32_e32 v4, v6
	v_mov_b32_e32 v6, v45
	v_pk_mul_f32 v[18:19], v[6:7], s[12:13] op_sel_hi:[0,1]
	v_mov_b32_e32 v5, v3
	v_pk_fma_f32 v[10:11], v[82:83], s[14:15], v[8:9] neg_lo:[0,0,1] neg_hi:[0,0,1]
	v_pk_fma_f32 v[8:9], v[82:83], s[14:15], v[8:9] op_sel_hi:[0,1,1]
	v_pk_fma_f32 v[18:19], v[44:45], s[6:7], v[18:19] op_sel_hi:[0,1,1] neg_lo:[0,0,1] neg_hi:[0,0,1]
	v_mov_b32_e32 v3, v7
	v_pk_add_f32 v[12:13], v[0:1], v[80:81]
	v_mov_b32_e32 v11, v9
	v_pk_add_f32 v[6:7], v[2:3], v[18:19]
	v_pk_add_f32 v[12:13], v[12:13], v[16:17]
	;; [unrolled: 1-line block ×3, first 2 shown]
	v_pk_add_f32 v[14:15], v[58:59], v[62:63] neg_lo:[0,1] neg_hi:[0,1]
	v_pk_add_f32 v[8:9], v[4:5], v[10:11]
	ds_write_b64 v246, v[6:7] offset:12480
	v_pk_add_f32 v[6:7], v[42:43], v[46:47] neg_lo:[0,1] neg_hi:[0,1]
	v_accvgpr_read_b32 v21, a89
	v_pk_add_f32 v[4:5], v[4:5], v[10:11] neg_lo:[0,1] neg_hi:[0,1]
	v_pk_add_f32 v[2:3], v[2:3], v[18:19] neg_lo:[0,1] neg_hi:[0,1]
	v_fmac_f32_e32 v37, -0.5, v93
	v_pk_add_f32 v[88:89], v[12:13], v[34:35]
	ds_write2_b64 v21, v[14:15], v[6:7] offset0:120 offset1:240
	ds_write_b64 v246, v[4:5] offset:22080
	ds_write_b64 v246, v[2:3] offset:26880
	;; [unrolled: 1-line block ×3, first 2 shown]
	v_pk_add_f32 v[2:3], v[80:81], v[16:17]
	v_fmac_f32_e32 v32, -0.5, v92
	v_fmamk_f32 v38, v96, 0x3f5db3d7, v37
	v_pk_fma_f32 v[0:1], v[2:3], 0.5, v[0:1] op_sel_hi:[1,0,1] neg_lo:[1,0,0] neg_hi:[1,0,0]
	v_pk_add_f32 v[2:3], v[80:81], v[16:17] neg_lo:[0,1] neg_hi:[0,1]
	v_fmamk_f32 v36, v97, 0xbf5db3d7, v32
	v_fmac_f32_e32 v37, 0xbf5db3d7, v96
	v_pk_mul_f32 v[2:3], v[2:3], s[12:13] op_sel_hi:[1,0]
	v_pk_mul_f32 v[6:7], v[38:39], s[12:13] op_sel_hi:[0,1]
	v_pk_add_f32 v[4:5], v[0:1], v[2:3] op_sel:[0,1] op_sel_hi:[1,0] neg_lo:[0,1] neg_hi:[0,1]
	v_pk_add_f32 v[0:1], v[0:1], v[2:3] op_sel:[0,1] op_sel_hi:[1,0]
	v_pk_fma_f32 v[10:11], v[36:37], s[14:15], v[6:7] neg_lo:[0,0,1] neg_hi:[0,0,1]
	v_pk_fma_f32 v[6:7], v[36:37], s[14:15], v[6:7] op_sel_hi:[0,1,1]
	v_mov_b32_e32 v2, v4
	v_mov_b32_e32 v3, v1
	;; [unrolled: 1-line block ×3, first 2 shown]
	v_pk_add_f32 v[6:7], v[2:3], v[10:11]
	v_mov_b32_e32 v4, v37
	v_fmac_f32_e32 v32, 0x3f5db3d7, v97
	ds_write2_b64 v39, v[8:9], v[6:7] offset0:64 offset1:184
	v_pk_mul_f32 v[6:7], v[4:5], s[12:13] op_sel_hi:[0,1]
	v_pk_fma_f32 v[6:7], v[32:33], s[6:7], v[6:7] op_sel_hi:[0,1,1] neg_lo:[0,0,1] neg_hi:[0,0,1]
	v_mov_b32_e32 v1, v5
	v_pk_add_f32 v[4:5], v[0:1], v[6:7]
	ds_write_b64 v246, v[4:5] offset:13440
	v_pk_add_f32 v[4:5], v[12:13], v[34:35] neg_lo:[0,1] neg_hi:[0,1]
	v_pk_add_f32 v[2:3], v[2:3], v[10:11] neg_lo:[0,1] neg_hi:[0,1]
	;; [unrolled: 1-line block ×3, first 2 shown]
	ds_write_b64 v246, v[4:5] offset:18240
	ds_write_b64 v246, v[2:3] offset:23040
	;; [unrolled: 1-line block ×3, first 2 shown]
	s_waitcnt lgkmcnt(0)
	s_barrier
	ds_read2_b64 v[10:13], v246 offset1:120
	v_accvgpr_read_b32 v2, a44
	v_accvgpr_read_b32 v3, a45
	s_mov_b32 s2, 0x789abcdf
	s_mov_b32 s3, 0x3f323456
	s_waitcnt lgkmcnt(0)
	v_mul_f32_e32 v0, v3, v11
	v_fmac_f32_e32 v0, v2, v10
	v_cvt_f64_f32_e32 v[0:1], v0
	v_mul_f64 v[0:1], v[0:1], s[2:3]
	v_cvt_f32_f64_e32 v0, v[0:1]
	v_mul_f32_e32 v1, v3, v10
	v_fma_f32 v1, v2, v11, -v1
	v_cvt_f64_f32_e32 v[2:3], v1
	v_mul_f64 v[2:3], v[2:3], s[2:3]
	v_cvt_f32_f64_e32 v1, v[2:3]
	v_mad_u64_u32 v[2:3], s[4:5], s0, v228, 0
	v_mov_b32_e32 v4, v3
	v_mad_u64_u32 v[4:5], s[4:5], s1, v228, v[4:5]
	v_mov_b32_e32 v3, v4
	v_accvgpr_read_b32 v4, a16
	v_accvgpr_read_b32 v6, a20
	;; [unrolled: 1-line block ×4, first 2 shown]
	v_lshl_add_u64 v[30:31], v[6:7], 3, v[4:5]
	v_lshl_add_u64 v[4:5], v[2:3], 3, v[30:31]
	global_store_dwordx2 v[4:5], v[0:1], off
	ds_read2_b64 v[0:3], v225 offset0:112 offset1:232
	v_accvgpr_read_b32 v8, a42
	v_accvgpr_read_b32 v9, a43
	ds_read2_b64 v[14:17], v71 offset0:80 offset1:200
	v_accvgpr_read_b32 v10, a36
	s_waitcnt lgkmcnt(1)
	v_mul_f32_e32 v6, v9, v3
	v_fmac_f32_e32 v6, v8, v2
	v_mul_f32_e32 v2, v9, v2
	v_fma_f32 v2, v8, v3, -v2
	v_cvt_f64_f32_e32 v[6:7], v6
	v_cvt_f64_f32_e32 v[2:3], v2
	v_mul_f64 v[6:7], v[6:7], s[2:3]
	v_mul_f64 v[2:3], v[2:3], s[2:3]
	v_cvt_f32_f64_e32 v6, v[6:7]
	v_cvt_f32_f64_e32 v7, v[2:3]
	v_mad_u64_u32 v[2:3], s[4:5], s0, v94, v[4:5]
	s_mul_i32 s4, s1, 0xb40
	s_nop 0
	v_add_u32_e32 v3, s4, v3
	global_store_dwordx2 v[2:3], v[6:7], off
	v_accvgpr_read_b32 v6, a38
	v_accvgpr_read_b32 v7, a39
	s_waitcnt lgkmcnt(0)
	v_mul_f32_e32 v4, v7, v15
	v_fmac_f32_e32 v4, v6, v14
	v_cvt_f64_f32_e32 v[4:5], v4
	v_mul_f64 v[4:5], v[4:5], s[2:3]
	v_cvt_f32_f64_e32 v4, v[4:5]
	v_mul_f32_e32 v5, v7, v14
	v_fma_f32 v5, v6, v15, -v5
	v_cvt_f64_f32_e32 v[6:7], v5
	v_mul_f64 v[6:7], v[6:7], s[2:3]
	v_cvt_f32_f64_e32 v5, v[6:7]
	v_mad_u64_u32 v[6:7], s[6:7], s0, v94, v[2:3]
	v_add_u32_e32 v7, s4, v7
	global_store_dwordx2 v[6:7], v[4:5], off
	ds_read2_b64 v[2:5], v39 offset0:64 offset1:184
	v_accvgpr_read_b32 v11, a37
	ds_read2_b64 v[18:21], v95 offset0:32 offset1:152
	v_accvgpr_read_b32 v14, a32
	v_accvgpr_read_b32 v15, a33
	s_waitcnt lgkmcnt(1)
	v_mul_f32_e32 v8, v11, v5
	v_fmac_f32_e32 v8, v10, v4
	v_mul_f32_e32 v4, v11, v4
	v_fma_f32 v4, v10, v5, -v4
	v_cvt_f64_f32_e32 v[8:9], v8
	v_cvt_f64_f32_e32 v[4:5], v4
	v_mul_f64 v[8:9], v[8:9], s[2:3]
	v_mul_f64 v[4:5], v[4:5], s[2:3]
	v_cvt_f32_f64_e32 v8, v[8:9]
	v_cvt_f32_f64_e32 v9, v[4:5]
	v_mad_u64_u32 v[4:5], s[6:7], s0, v94, v[6:7]
	v_add_u32_e32 v5, s4, v5
	global_store_dwordx2 v[4:5], v[8:9], off
	v_accvgpr_read_b32 v8, a34
	v_accvgpr_read_b32 v9, a35
	s_waitcnt lgkmcnt(0)
	v_mul_f32_e32 v6, v9, v19
	v_fmac_f32_e32 v6, v8, v18
	v_cvt_f64_f32_e32 v[6:7], v6
	v_mul_f64 v[6:7], v[6:7], s[2:3]
	v_cvt_f32_f64_e32 v6, v[6:7]
	v_mul_f32_e32 v7, v9, v18
	v_fma_f32 v7, v8, v19, -v7
	v_cvt_f64_f32_e32 v[8:9], v7
	v_mul_f64 v[8:9], v[8:9], s[2:3]
	v_cvt_f32_f64_e32 v7, v[8:9]
	v_mad_u64_u32 v[8:9], s[6:7], s0, v94, v[4:5]
	v_add_u32_e32 v9, s4, v9
	global_store_dwordx2 v[8:9], v[6:7], off
	ds_read2_b64 v[4:7], v113 offset0:16 offset1:136
	ds_read2_b64 v[22:25], v65 offset0:112 offset1:232
	v_accvgpr_read_b32 v18, a28
	v_accvgpr_read_b32 v19, a29
	ds_read2_b64 v[26:29], v239 offset0:64 offset1:184
	s_waitcnt lgkmcnt(2)
	v_mul_f32_e32 v10, v15, v7
	v_fmac_f32_e32 v10, v14, v6
	v_mul_f32_e32 v6, v15, v6
	v_fma_f32 v6, v14, v7, -v6
	v_cvt_f64_f32_e32 v[10:11], v10
	v_cvt_f64_f32_e32 v[6:7], v6
	v_mul_f64 v[10:11], v[10:11], s[2:3]
	v_mul_f64 v[6:7], v[6:7], s[2:3]
	v_cvt_f32_f64_e32 v10, v[10:11]
	v_cvt_f32_f64_e32 v11, v[6:7]
	v_mad_u64_u32 v[6:7], s[6:7], s0, v94, v[8:9]
	v_add_u32_e32 v7, s4, v7
	global_store_dwordx2 v[6:7], v[10:11], off
	v_accvgpr_read_b32 v10, a30
	v_accvgpr_read_b32 v11, a31
	s_waitcnt lgkmcnt(1)
	v_mul_f32_e32 v8, v11, v23
	v_fmac_f32_e32 v8, v10, v22
	v_cvt_f64_f32_e32 v[8:9], v8
	v_mul_f64 v[8:9], v[8:9], s[2:3]
	v_cvt_f32_f64_e32 v8, v[8:9]
	v_mul_f32_e32 v9, v11, v22
	v_fma_f32 v9, v10, v23, -v9
	v_cvt_f64_f32_e32 v[10:11], v9
	v_mul_f64 v[10:11], v[10:11], s[2:3]
	v_cvt_f32_f64_e32 v9, v[10:11]
	v_mad_u64_u32 v[10:11], s[6:7], s0, v94, v[6:7]
	v_add_u32_e32 v11, s4, v11
	global_store_dwordx2 v[10:11], v[8:9], off
	ds_read2_b64 v[6:9], v112 offset0:96 offset1:216
	v_accvgpr_read_b32 v22, a22
	v_accvgpr_read_b32 v23, a23
	v_mov_b32_e32 v32, 0xffff9e80
	s_mul_i32 s5, s1, 0xffff9e80
	s_waitcnt lgkmcnt(0)
	v_mul_f32_e32 v14, v19, v9
	v_fmac_f32_e32 v14, v18, v8
	v_mul_f32_e32 v8, v19, v8
	v_fma_f32 v8, v18, v9, -v8
	v_cvt_f64_f32_e32 v[14:15], v14
	v_cvt_f64_f32_e32 v[8:9], v8
	v_mul_f64 v[14:15], v[14:15], s[2:3]
	v_mul_f64 v[8:9], v[8:9], s[2:3]
	v_cvt_f32_f64_e32 v14, v[14:15]
	v_cvt_f32_f64_e32 v15, v[8:9]
	v_mad_u64_u32 v[8:9], s[6:7], s0, v94, v[10:11]
	v_add_u32_e32 v9, s4, v9
	global_store_dwordx2 v[8:9], v[14:15], off
	v_accvgpr_read_b32 v14, a26
	v_accvgpr_read_b32 v15, a27
	v_mul_f32_e32 v10, v15, v27
	v_fmac_f32_e32 v10, v14, v26
	v_cvt_f64_f32_e32 v[10:11], v10
	v_mul_f64 v[10:11], v[10:11], s[2:3]
	v_cvt_f32_f64_e32 v10, v[10:11]
	v_mul_f32_e32 v11, v15, v26
	v_fma_f32 v11, v14, v27, -v11
	v_cvt_f64_f32_e32 v[14:15], v11
	v_mul_f64 v[14:15], v[14:15], s[2:3]
	v_cvt_f32_f64_e32 v11, v[14:15]
	v_mad_u64_u32 v[14:15], s[6:7], s0, v94, v[8:9]
	v_add_u32_e32 v15, s4, v15
	global_store_dwordx2 v[14:15], v[10:11], off
	ds_read2_b64 v[8:11], v67 offset0:48 offset1:168
	s_sub_i32 s5, s5, s0
	s_waitcnt lgkmcnt(0)
	v_mul_f32_e32 v18, v23, v11
	v_fmac_f32_e32 v18, v22, v10
	v_mul_f32_e32 v10, v23, v10
	v_fma_f32 v10, v22, v11, -v10
	v_cvt_f64_f32_e32 v[18:19], v18
	v_cvt_f64_f32_e32 v[10:11], v10
	v_mul_f64 v[18:19], v[18:19], s[2:3]
	v_mul_f64 v[10:11], v[10:11], s[2:3]
	v_cvt_f32_f64_e32 v18, v[18:19]
	v_cvt_f32_f64_e32 v19, v[10:11]
	v_mad_u64_u32 v[10:11], s[6:7], s0, v94, v[14:15]
	v_add_u32_e32 v11, s4, v11
	global_store_dwordx2 v[10:11], v[18:19], off
	v_accvgpr_read_b32 v18, a40
	v_accvgpr_read_b32 v19, a41
	v_mul_f32_e32 v14, v19, v13
	v_fmac_f32_e32 v14, v18, v12
	v_mul_f32_e32 v12, v19, v12
	v_fma_f32 v12, v18, v13, -v12
	v_cvt_f64_f32_e32 v[14:15], v14
	v_cvt_f64_f32_e32 v[12:13], v12
	v_mul_f64 v[14:15], v[14:15], s[2:3]
	v_mul_f64 v[12:13], v[12:13], s[2:3]
	v_cvt_f32_f64_e32 v14, v[14:15]
	v_cvt_f32_f64_e32 v15, v[12:13]
	v_mad_u64_u32 v[18:19], s[6:7], s0, v32, v[10:11]
	ds_read2_b64 v[10:13], v243 offset0:96 offset1:216
	v_accvgpr_read_b32 v22, a24
	v_add_u32_e32 v19, s5, v19
	v_accvgpr_read_b32 v23, a25
	global_store_dwordx2 v[18:19], v[14:15], off
	s_waitcnt lgkmcnt(0)
	v_mul_f32_e32 v14, v23, v11
	v_fmac_f32_e32 v14, v22, v10
	v_mul_f32_e32 v10, v23, v10
	v_fma_f32 v10, v22, v11, -v10
	v_cvt_f64_f32_e32 v[14:15], v14
	v_cvt_f64_f32_e32 v[10:11], v10
	v_mul_f64 v[14:15], v[14:15], s[2:3]
	v_mul_f64 v[10:11], v[10:11], s[2:3]
	v_cvt_f32_f64_e32 v14, v[14:15]
	v_cvt_f32_f64_e32 v15, v[10:11]
	v_mad_u64_u32 v[10:11], s[6:7], s0, v94, v[18:19]
	v_accvgpr_read_b32 v18, a18
	v_add_u32_e32 v11, s4, v11
	v_accvgpr_read_b32 v19, a19
	global_store_dwordx2 v[10:11], v[14:15], off
	v_mul_f32_e32 v14, v19, v17
	v_fmac_f32_e32 v14, v18, v16
	v_cvt_f64_f32_e32 v[14:15], v14
	v_mul_f64 v[14:15], v[14:15], s[2:3]
	v_cvt_f32_f64_e32 v14, v[14:15]
	v_mul_f32_e32 v15, v19, v16
	v_fma_f32 v15, v18, v17, -v15
	v_cvt_f64_f32_e32 v[16:17], v15
	v_mul_f64 v[16:17], v[16:17], s[2:3]
	v_mad_u64_u32 v[10:11], s[6:7], s0, v94, v[10:11]
	v_cvt_f32_f64_e32 v15, v[16:17]
	v_add_u32_e32 v11, s4, v11
	global_store_dwordx2 v[10:11], v[14:15], off
	ds_read2_b64 v[14:17], v247 offset0:48 offset1:168
	v_accvgpr_read_b32 v23, a15
	v_accvgpr_read_b32 v22, a14
	v_mad_u64_u32 v[10:11], s[6:7], s0, v94, v[10:11]
	s_waitcnt lgkmcnt(0)
	v_mul_f32_e32 v18, v23, v15
	v_fmac_f32_e32 v18, v22, v14
	v_mul_f32_e32 v14, v23, v14
	v_fma_f32 v14, v22, v15, -v14
	v_cvt_f64_f32_e32 v[18:19], v18
	v_cvt_f64_f32_e32 v[14:15], v14
	v_mul_f64 v[18:19], v[18:19], s[2:3]
	v_mul_f64 v[14:15], v[14:15], s[2:3]
	v_cvt_f32_f64_e32 v18, v[18:19]
	v_cvt_f32_f64_e32 v19, v[14:15]
	v_add_u32_e32 v11, s4, v11
	global_store_dwordx2 v[10:11], v[18:19], off
	v_accvgpr_read_b32 v19, a13
	v_accvgpr_read_b32 v18, a12
	v_mul_f32_e32 v14, v19, v21
	v_fmac_f32_e32 v14, v18, v20
	v_cvt_f64_f32_e32 v[14:15], v14
	v_mul_f64 v[14:15], v[14:15], s[2:3]
	v_cvt_f32_f64_e32 v14, v[14:15]
	v_mul_f32_e32 v15, v19, v20
	v_fma_f32 v15, v18, v21, -v15
	v_cvt_f64_f32_e32 v[18:19], v15
	v_mul_f64 v[18:19], v[18:19], s[2:3]
	v_cvt_f32_f64_e32 v15, v[18:19]
	ds_read2_b64 v[18:21], v235 offset0:128 offset1:248
	v_mad_u64_u32 v[10:11], s[6:7], s0, v94, v[10:11]
	v_add_u32_e32 v11, s4, v11
	v_accvgpr_read_b32 v23, a11
	global_store_dwordx2 v[10:11], v[14:15], off
	v_accvgpr_read_b32 v22, a10
	s_waitcnt lgkmcnt(0)
	v_mul_f32_e32 v14, v23, v19
	v_fmac_f32_e32 v14, v22, v18
	v_cvt_f64_f32_e32 v[14:15], v14
	v_mul_f64 v[14:15], v[14:15], s[2:3]
	v_cvt_f32_f64_e32 v14, v[14:15]
	v_mul_f32_e32 v15, v23, v18
	v_fma_f32 v15, v22, v19, -v15
	v_cvt_f64_f32_e32 v[18:19], v15
	v_mul_f64 v[18:19], v[18:19], s[2:3]
	v_accvgpr_read_b32 v23, a6
	v_cvt_f32_f64_e32 v15, v[18:19]
	v_mad_u64_u32 v[18:19], s[6:7], s0, v23, 0
	v_mov_b32_e32 v22, v19
	v_mad_u64_u32 v[22:23], s[6:7], s1, v23, v[22:23]
	v_mov_b32_e32 v19, v22
	v_lshl_add_u64 v[18:19], v[18:19], 3, v[30:31]
	global_store_dwordx2 v[18:19], v[14:15], off
	v_accvgpr_read_b32 v19, a9
	v_accvgpr_read_b32 v18, a8
	v_mul_f32_e32 v14, v19, v25
	v_fmac_f32_e32 v14, v18, v24
	v_cvt_f64_f32_e32 v[14:15], v14
	v_mul_f64 v[14:15], v[14:15], s[2:3]
	v_cvt_f32_f64_e32 v14, v[14:15]
	v_mul_f32_e32 v15, v19, v24
	v_fma_f32 v15, v18, v25, -v15
	v_cvt_f64_f32_e32 v[18:19], v15
	ds_read2_b64 v[22:25], v114 offset0:80 offset1:200
	v_mul_f64 v[18:19], v[18:19], s[2:3]
	v_cvt_f32_f64_e32 v15, v[18:19]
	v_mov_b32_e32 v18, 0x1680
	v_mad_u64_u32 v[10:11], s[6:7], s0, v18, v[10:11]
	s_mulk_i32 s1, 0x1680
	v_add_u32_e32 v11, s1, v11
	v_accvgpr_read_b32 v19, a5
	global_store_dwordx2 v[10:11], v[14:15], off
	v_accvgpr_read_b32 v18, a4
	s_waitcnt lgkmcnt(0)
	v_mul_f32_e32 v14, v19, v23
	v_fmac_f32_e32 v14, v18, v22
	v_cvt_f64_f32_e32 v[14:15], v14
	v_mul_f64 v[14:15], v[14:15], s[2:3]
	v_cvt_f32_f64_e32 v14, v[14:15]
	v_mul_f32_e32 v15, v19, v22
	v_fma_f32 v15, v18, v23, -v15
	v_cvt_f64_f32_e32 v[18:19], v15
	v_mul_f64 v[18:19], v[18:19], s[2:3]
	v_mad_u64_u32 v[10:11], s[6:7], s0, v94, v[10:11]
	v_cvt_f32_f64_e32 v15, v[18:19]
	v_add_u32_e32 v11, s4, v11
	v_accvgpr_read_b32 v19, a3
	global_store_dwordx2 v[10:11], v[14:15], off
	v_accvgpr_read_b32 v18, a2
	v_mul_f32_e32 v14, v19, v29
	v_fmac_f32_e32 v14, v18, v28
	v_cvt_f64_f32_e32 v[14:15], v14
	v_mul_f64 v[14:15], v[14:15], s[2:3]
	v_cvt_f32_f64_e32 v14, v[14:15]
	v_mul_f32_e32 v15, v19, v28
	v_fma_f32 v15, v18, v29, -v15
	ds_read2_b64 v[26:29], v128 offset0:32 offset1:152
	v_cvt_f64_f32_e32 v[18:19], v15
	v_mul_f64 v[18:19], v[18:19], s[2:3]
	v_mad_u64_u32 v[10:11], s[6:7], s0, v94, v[10:11]
	v_cvt_f32_f64_e32 v15, v[18:19]
	v_add_u32_e32 v11, s4, v11
	v_accvgpr_read_b32 v19, a1
	global_store_dwordx2 v[10:11], v[14:15], off
	v_accvgpr_read_b32 v18, a0
	s_waitcnt lgkmcnt(0)
	v_mul_f32_e32 v14, v19, v27
	v_fmac_f32_e32 v14, v18, v26
	v_cvt_f64_f32_e32 v[14:15], v14
	v_mul_f64 v[14:15], v[14:15], s[2:3]
	v_cvt_f32_f64_e32 v14, v[14:15]
	v_mul_f32_e32 v15, v19, v26
	v_fma_f32 v15, v18, v27, -v15
	v_cvt_f64_f32_e32 v[18:19], v15
	v_mul_f64 v[18:19], v[18:19], s[2:3]
	v_cvt_f32_f64_e32 v15, v[18:19]
	v_mad_u64_u32 v[10:11], s[6:7], s0, v94, v[10:11]
	v_accvgpr_read_b32 v18, a48
	v_add_u32_e32 v11, s4, v11
	v_accvgpr_read_b32 v19, a49
	global_store_dwordx2 v[10:11], v[14:15], off
	v_mul_f32_e32 v14, v19, v1
	v_fmac_f32_e32 v14, v18, v0
	v_mul_f32_e32 v0, v19, v0
	v_fma_f32 v0, v18, v1, -v0
	v_cvt_f64_f32_e32 v[14:15], v14
	v_cvt_f64_f32_e32 v[0:1], v0
	v_mul_f64 v[14:15], v[14:15], s[2:3]
	v_mul_f64 v[0:1], v[0:1], s[2:3]
	v_cvt_f32_f64_e32 v14, v[14:15]
	v_cvt_f32_f64_e32 v15, v[0:1]
	v_mad_u64_u32 v[0:1], s[6:7], s0, v32, v[10:11]
	v_add_u32_e32 v1, s5, v1
	global_store_dwordx2 v[0:1], v[14:15], off
	v_accvgpr_read_b32 v14, a46
	v_accvgpr_read_b32 v15, a47
	v_mul_f32_e32 v10, v15, v13
	v_fmac_f32_e32 v10, v14, v12
	v_cvt_f64_f32_e32 v[10:11], v10
	v_mul_f64 v[10:11], v[10:11], s[2:3]
	v_cvt_f32_f64_e32 v10, v[10:11]
	v_mul_f32_e32 v11, v15, v12
	v_fma_f32 v11, v14, v13, -v11
	v_cvt_f64_f32_e32 v[12:13], v11
	v_mul_f64 v[12:13], v[12:13], s[2:3]
	v_cvt_f32_f64_e32 v11, v[12:13]
	v_mad_u64_u32 v[0:1], s[6:7], s0, v94, v[0:1]
	v_accvgpr_read_b32 v12, a50
	v_add_u32_e32 v1, s4, v1
	v_accvgpr_read_b32 v13, a51
	global_store_dwordx2 v[0:1], v[10:11], off
	v_mul_f32_e32 v10, v13, v3
	v_fmac_f32_e32 v10, v12, v2
	v_mul_f32_e32 v2, v13, v2
	v_fma_f32 v2, v12, v3, -v2
	v_cvt_f64_f32_e32 v[10:11], v10
	v_cvt_f64_f32_e32 v[2:3], v2
	v_mul_f64 v[10:11], v[10:11], s[2:3]
	v_mul_f64 v[2:3], v[2:3], s[2:3]
	v_mad_u64_u32 v[0:1], s[6:7], s0, v94, v[0:1]
	v_cvt_f32_f64_e32 v10, v[10:11]
	v_cvt_f32_f64_e32 v11, v[2:3]
	v_add_u32_e32 v1, s4, v1
	global_store_dwordx2 v[0:1], v[10:11], off
	v_accvgpr_read_b32 v10, a54
	v_accvgpr_read_b32 v11, a55
	v_mul_f32_e32 v2, v11, v17
	v_fmac_f32_e32 v2, v10, v16
	v_cvt_f64_f32_e32 v[2:3], v2
	v_mul_f64 v[2:3], v[2:3], s[2:3]
	v_cvt_f32_f64_e32 v2, v[2:3]
	v_mul_f32_e32 v3, v11, v16
	v_fma_f32 v3, v10, v17, -v3
	v_cvt_f64_f32_e32 v[10:11], v3
	v_mul_f64 v[10:11], v[10:11], s[2:3]
	v_cvt_f32_f64_e32 v3, v[10:11]
	v_mad_u64_u32 v[0:1], s[6:7], s0, v94, v[0:1]
	v_accvgpr_read_b32 v10, a52
	v_add_u32_e32 v1, s4, v1
	v_accvgpr_read_b32 v11, a53
	global_store_dwordx2 v[0:1], v[2:3], off
	v_mul_f32_e32 v2, v11, v5
	v_fmac_f32_e32 v2, v10, v4
	v_cvt_f64_f32_e32 v[2:3], v2
	v_mul_f64 v[2:3], v[2:3], s[2:3]
	v_cvt_f32_f64_e32 v2, v[2:3]
	v_mul_f32_e32 v3, v11, v4
	v_fma_f32 v3, v10, v5, -v3
	v_cvt_f64_f32_e32 v[4:5], v3
	v_mul_f64 v[4:5], v[4:5], s[2:3]
	v_cvt_f32_f64_e32 v3, v[4:5]
	v_mad_u64_u32 v[0:1], s[6:7], s0, v94, v[0:1]
	v_accvgpr_read_b32 v4, a56
	v_add_u32_e32 v1, s4, v1
	v_accvgpr_read_b32 v5, a57
	global_store_dwordx2 v[0:1], v[2:3], off
	;; [unrolled: 15-line block ×6, first 2 shown]
	v_mul_f32_e32 v2, v5, v29
	v_fmac_f32_e32 v2, v4, v28
	v_cvt_f64_f32_e32 v[2:3], v2
	v_mul_f64 v[2:3], v[2:3], s[2:3]
	v_cvt_f32_f64_e32 v2, v[2:3]
	v_mul_f32_e32 v3, v5, v28
	v_fma_f32 v3, v4, v29, -v3
	v_cvt_f64_f32_e32 v[4:5], v3
	v_mul_f64 v[4:5], v[4:5], s[2:3]
	v_mad_u64_u32 v[0:1], s[0:1], s0, v94, v[0:1]
	v_cvt_f32_f64_e32 v3, v[4:5]
	v_add_u32_e32 v1, s4, v1
	global_store_dwordx2 v[0:1], v[2:3], off
.LBB0_2:
	s_endpgm
	.section	.rodata,"a",@progbits
	.p2align	6, 0x0
	.amdhsa_kernel bluestein_single_fwd_len3600_dim1_sp_op_CI_CI
		.amdhsa_group_segment_fixed_size 28800
		.amdhsa_private_segment_fixed_size 0
		.amdhsa_kernarg_size 104
		.amdhsa_user_sgpr_count 2
		.amdhsa_user_sgpr_dispatch_ptr 0
		.amdhsa_user_sgpr_queue_ptr 0
		.amdhsa_user_sgpr_kernarg_segment_ptr 1
		.amdhsa_user_sgpr_dispatch_id 0
		.amdhsa_user_sgpr_kernarg_preload_length 0
		.amdhsa_user_sgpr_kernarg_preload_offset 0
		.amdhsa_user_sgpr_private_segment_size 0
		.amdhsa_uses_dynamic_stack 0
		.amdhsa_enable_private_segment 0
		.amdhsa_system_sgpr_workgroup_id_x 1
		.amdhsa_system_sgpr_workgroup_id_y 0
		.amdhsa_system_sgpr_workgroup_id_z 0
		.amdhsa_system_sgpr_workgroup_info 0
		.amdhsa_system_vgpr_workitem_id 0
		.amdhsa_next_free_vgpr 405
		.amdhsa_next_free_sgpr 26
		.amdhsa_accum_offset 256
		.amdhsa_reserve_vcc 1
		.amdhsa_float_round_mode_32 0
		.amdhsa_float_round_mode_16_64 0
		.amdhsa_float_denorm_mode_32 3
		.amdhsa_float_denorm_mode_16_64 3
		.amdhsa_dx10_clamp 1
		.amdhsa_ieee_mode 1
		.amdhsa_fp16_overflow 0
		.amdhsa_tg_split 0
		.amdhsa_exception_fp_ieee_invalid_op 0
		.amdhsa_exception_fp_denorm_src 0
		.amdhsa_exception_fp_ieee_div_zero 0
		.amdhsa_exception_fp_ieee_overflow 0
		.amdhsa_exception_fp_ieee_underflow 0
		.amdhsa_exception_fp_ieee_inexact 0
		.amdhsa_exception_int_div_zero 0
	.end_amdhsa_kernel
	.text
.Lfunc_end0:
	.size	bluestein_single_fwd_len3600_dim1_sp_op_CI_CI, .Lfunc_end0-bluestein_single_fwd_len3600_dim1_sp_op_CI_CI
                                        ; -- End function
	.section	.AMDGPU.csdata,"",@progbits
; Kernel info:
; codeLenInByte = 30548
; NumSgprs: 32
; NumVgprs: 256
; NumAgprs: 149
; TotalNumVgprs: 405
; ScratchSize: 0
; MemoryBound: 0
; FloatMode: 240
; IeeeMode: 1
; LDSByteSize: 28800 bytes/workgroup (compile time only)
; SGPRBlocks: 3
; VGPRBlocks: 50
; NumSGPRsForWavesPerEU: 32
; NumVGPRsForWavesPerEU: 405
; AccumOffset: 256
; Occupancy: 1
; WaveLimiterHint : 1
; COMPUTE_PGM_RSRC2:SCRATCH_EN: 0
; COMPUTE_PGM_RSRC2:USER_SGPR: 2
; COMPUTE_PGM_RSRC2:TRAP_HANDLER: 0
; COMPUTE_PGM_RSRC2:TGID_X_EN: 1
; COMPUTE_PGM_RSRC2:TGID_Y_EN: 0
; COMPUTE_PGM_RSRC2:TGID_Z_EN: 0
; COMPUTE_PGM_RSRC2:TIDIG_COMP_CNT: 0
; COMPUTE_PGM_RSRC3_GFX90A:ACCUM_OFFSET: 63
; COMPUTE_PGM_RSRC3_GFX90A:TG_SPLIT: 0
	.text
	.p2alignl 6, 3212836864
	.fill 256, 4, 3212836864
	.type	__hip_cuid_2b0df0e6bc91f294,@object ; @__hip_cuid_2b0df0e6bc91f294
	.section	.bss,"aw",@nobits
	.globl	__hip_cuid_2b0df0e6bc91f294
__hip_cuid_2b0df0e6bc91f294:
	.byte	0                               ; 0x0
	.size	__hip_cuid_2b0df0e6bc91f294, 1

	.ident	"AMD clang version 19.0.0git (https://github.com/RadeonOpenCompute/llvm-project roc-6.4.0 25133 c7fe45cf4b819c5991fe208aaa96edf142730f1d)"
	.section	".note.GNU-stack","",@progbits
	.addrsig
	.addrsig_sym __hip_cuid_2b0df0e6bc91f294
	.amdgpu_metadata
---
amdhsa.kernels:
  - .agpr_count:     149
    .args:
      - .actual_access:  read_only
        .address_space:  global
        .offset:         0
        .size:           8
        .value_kind:     global_buffer
      - .actual_access:  read_only
        .address_space:  global
        .offset:         8
        .size:           8
        .value_kind:     global_buffer
      - .actual_access:  read_only
        .address_space:  global
        .offset:         16
        .size:           8
        .value_kind:     global_buffer
      - .actual_access:  read_only
        .address_space:  global
        .offset:         24
        .size:           8
        .value_kind:     global_buffer
      - .actual_access:  read_only
        .address_space:  global
        .offset:         32
        .size:           8
        .value_kind:     global_buffer
      - .offset:         40
        .size:           8
        .value_kind:     by_value
      - .address_space:  global
        .offset:         48
        .size:           8
        .value_kind:     global_buffer
      - .address_space:  global
        .offset:         56
        .size:           8
        .value_kind:     global_buffer
      - .address_space:  global
        .offset:         64
        .size:           8
        .value_kind:     global_buffer
      - .address_space:  global
        .offset:         72
        .size:           8
        .value_kind:     global_buffer
      - .offset:         80
        .size:           4
        .value_kind:     by_value
      - .address_space:  global
        .offset:         88
        .size:           8
        .value_kind:     global_buffer
      - .address_space:  global
        .offset:         96
        .size:           8
        .value_kind:     global_buffer
    .group_segment_fixed_size: 28800
    .kernarg_segment_align: 8
    .kernarg_segment_size: 104
    .language:       OpenCL C
    .language_version:
      - 2
      - 0
    .max_flat_workgroup_size: 120
    .name:           bluestein_single_fwd_len3600_dim1_sp_op_CI_CI
    .private_segment_fixed_size: 0
    .sgpr_count:     32
    .sgpr_spill_count: 0
    .symbol:         bluestein_single_fwd_len3600_dim1_sp_op_CI_CI.kd
    .uniform_work_group_size: 1
    .uses_dynamic_stack: false
    .vgpr_count:     405
    .vgpr_spill_count: 0
    .wavefront_size: 64
amdhsa.target:   amdgcn-amd-amdhsa--gfx950
amdhsa.version:
  - 1
  - 2
...

	.end_amdgpu_metadata
